;; amdgpu-corpus repo=ROCm/rocFFT kind=compiled arch=gfx1030 opt=O3
	.text
	.amdgcn_target "amdgcn-amd-amdhsa--gfx1030"
	.amdhsa_code_object_version 6
	.protected	bluestein_single_fwd_len1020_dim1_sp_op_CI_CI ; -- Begin function bluestein_single_fwd_len1020_dim1_sp_op_CI_CI
	.globl	bluestein_single_fwd_len1020_dim1_sp_op_CI_CI
	.p2align	8
	.type	bluestein_single_fwd_len1020_dim1_sp_op_CI_CI,@function
bluestein_single_fwd_len1020_dim1_sp_op_CI_CI: ; @bluestein_single_fwd_len1020_dim1_sp_op_CI_CI
; %bb.0:
	s_load_dwordx4 s[8:11], s[4:5], 0x28
	v_mul_u32_u24_e32 v1, 0x3c4, v0
	s_mov_b64 s[18:19], s[2:3]
	s_mov_b64 s[16:17], s[0:1]
	s_mov_b32 s0, exec_lo
	s_add_u32 s16, s16, s7
	v_lshrrev_b32_e32 v1, 16, v1
	s_addc_u32 s17, s17, 0
	v_mad_u64_u32 v[122:123], null, s6, 3, v[1:2]
	v_mov_b32_e32 v123, 0
	s_waitcnt lgkmcnt(0)
	v_cmpx_gt_u64_e64 s[8:9], v[122:123]
	s_cbranch_execz .LBB0_31
; %bb.1:
	s_clause 0x1
	s_load_dwordx4 s[0:3], s[4:5], 0x18
	s_load_dwordx2 s[6:7], s[4:5], 0x0
	v_mul_lo_u16 v1, 0x44, v1
	v_sub_nc_u16 v38, v0, v1
	v_and_b32_e32 v168, 0xffff, v38
	v_lshlrev_b32_e32 v32, 3, v168
	s_waitcnt lgkmcnt(0)
	s_load_dwordx4 s[12:15], s[0:1], 0x0
	s_clause 0x3
	global_load_dwordx2 v[139:140], v32, s[6:7]
	global_load_dwordx2 v[135:136], v32, s[6:7] offset:544
	global_load_dwordx2 v[133:134], v32, s[6:7] offset:1088
	;; [unrolled: 1-line block ×3, first 2 shown]
	v_add_co_u32 v78, s0, s6, v32
	v_add_co_ci_u32_e64 v79, null, s7, 0, s0
	v_add_co_u32 v28, vcc_lo, 0x800, v78
	v_add_co_ci_u32_e32 v29, vcc_lo, 0, v79, vcc_lo
	v_add_co_u32 v4, vcc_lo, 0x1000, v78
	v_add_co_ci_u32_e32 v5, vcc_lo, 0, v79, vcc_lo
	s_clause 0x3
	global_load_dwordx2 v[143:144], v[28:29], off offset:2032
	global_load_dwordx2 v[141:142], v[4:5], off offset:528
	global_load_dwordx2 v[137:138], v[4:5], off offset:1072
	global_load_dwordx2 v[131:132], v[4:5], off offset:1616
	s_waitcnt lgkmcnt(0)
	v_mad_u64_u32 v[0:1], null, s14, v122, 0
	v_mad_u64_u32 v[2:3], null, s12, v168, 0
	v_add_co_u32 v30, vcc_lo, 0x1800, v78
	v_add_co_ci_u32_e32 v31, vcc_lo, 0, v79, vcc_lo
	s_mul_i32 s1, s13, 0x1fe
	s_mul_hi_u32 s7, s12, 0x1fe
	v_mad_u64_u32 v[6:7], null, s15, v122, v[1:2]
	v_mad_u64_u32 v[3:4], null, s13, v168, v[3:4]
	s_mul_i32 s0, s12, 0x1fe
	s_mul_hi_u32 s9, s12, 0xfffffe46
	s_add_i32 s1, s7, s1
	s_mul_i32 s8, s13, 0xfffffe46
	v_mov_b32_e32 v1, v6
	s_mul_i32 s6, s12, 0xfffffe46
	v_lshlrev_b64 v[2:3], 3, v[2:3]
	s_sub_i32 s7, s9, s12
	s_lshl_b64 s[12:13], s[0:1], 3
	v_lshlrev_b64 v[0:1], 3, v[0:1]
	s_add_i32 s7, s7, s8
	s_clause 0x1
	global_load_dwordx2 v[118:119], v[28:29], off offset:128
	global_load_dwordx2 v[120:121], v[28:29], off offset:672
	s_lshl_b64 s[0:1], s[6:7], 3
	s_load_dwordx2 s[6:7], s[4:5], 0x38
	v_add_co_u32 v0, vcc_lo, s10, v0
	v_add_co_ci_u32_e32 v1, vcc_lo, s11, v1, vcc_lo
	v_add_co_u32 v0, vcc_lo, v0, v2
	v_add_co_ci_u32_e32 v1, vcc_lo, v1, v3, vcc_lo
	v_add_co_u32 v2, vcc_lo, v0, s12
	v_add_co_ci_u32_e32 v3, vcc_lo, s13, v1, vcc_lo
	global_load_dwordx2 v[6:7], v[0:1], off
	v_add_co_u32 v4, vcc_lo, v2, s0
	v_add_co_ci_u32_e32 v5, vcc_lo, s1, v3, vcc_lo
	s_clause 0x1
	global_load_dwordx2 v[123:124], v[30:31], off offset:112
	global_load_dwordx2 v[116:117], v[30:31], off offset:656
	v_add_co_u32 v0, vcc_lo, v4, s12
	v_add_co_ci_u32_e32 v1, vcc_lo, s13, v5, vcc_lo
	s_clause 0x2
	global_load_dwordx2 v[2:3], v[2:3], off
	global_load_dwordx2 v[10:11], v[4:5], off
	;; [unrolled: 1-line block ×3, first 2 shown]
	v_add_co_u32 v8, vcc_lo, v0, s0
	v_add_co_ci_u32_e32 v9, vcc_lo, s1, v1, vcc_lo
	v_add_co_u32 v0, vcc_lo, v8, s12
	v_add_co_ci_u32_e32 v1, vcc_lo, s13, v9, vcc_lo
	global_load_dwordx2 v[8:9], v[8:9], off
	v_add_co_u32 v4, vcc_lo, v0, s0
	v_add_co_ci_u32_e32 v5, vcc_lo, s1, v1, vcc_lo
	global_load_dwordx2 v[14:15], v[0:1], off
	;; [unrolled: 3-line block ×7, first 2 shown]
	v_add_co_u32 v4, vcc_lo, v0, s0
	global_load_dwordx2 v[26:27], v[0:1], off
	buffer_store_dword v28, off, s[16:19], 0 offset:8 ; 4-byte Folded Spill
	buffer_store_dword v29, off, s[16:19], 0 offset:12 ; 4-byte Folded Spill
	v_add_co_ci_u32_e32 v5, vcc_lo, s1, v1, vcc_lo
	v_add_co_u32 v0, vcc_lo, v4, s12
	global_load_dwordx2 v[127:128], v[28:29], off offset:1216
	global_load_dwordx2 v[28:29], v[4:5], off
	buffer_store_dword v30, off, s[16:19], 0 ; 4-byte Folded Spill
	buffer_store_dword v31, off, s[16:19], 0 offset:4 ; 4-byte Folded Spill
	v_add_co_ci_u32_e32 v1, vcc_lo, s13, v5, vcc_lo
	v_mul_hi_u32 v4, 0xaaaaaaab, v122
	s_waitcnt vmcnt(15)
	v_mul_f32_e32 v33, v6, v140
	s_waitcnt vmcnt(12)
	v_mul_f32_e32 v34, v3, v144
	;; [unrolled: 2-line block ×3, first 2 shown]
	v_mul_f32_e32 v37, v10, v136
	v_cmp_gt_u16_e32 vcc_lo, 34, v38
	v_fma_f32 v33, v7, v139, -v33
	v_fmac_f32_e32 v34, v2, v143
	v_lshrrev_b32_e32 v4, 1, v4
	v_fmac_f32_e32 v36, v10, v135
	s_waitcnt vmcnt(8)
	v_mul_f32_e32 v10, v15, v138
	v_fma_f32 v37, v11, v135, -v37
	v_mul_f32_e32 v11, v14, v138
	v_lshl_add_u32 v4, v4, 1, v4
	global_load_dwordx2 v[129:130], v[30:31], off offset:1200
	global_load_dwordx2 v[30:31], v[0:1], off
	v_sub_nc_u32_e32 v4, v122, v4
	v_fmac_f32_e32 v10, v14, v137
	s_waitcnt vmcnt(9)
	v_mul_f32_e32 v14, v16, v126
	s_load_dwordx4 s[8:11], s[2:3], 0x0
	v_fma_f32 v11, v15, v137, -v11
	v_mul_u32_u24_e32 v4, 0x3fc, v4
	s_waitcnt vmcnt(4)
	v_mul_f32_e32 v15, v27, v117
	v_lshlrev_b32_e32 v169, 3, v4
	v_fmac_f32_e32 v15, v26, v116
	v_add_nc_u32_e32 v167, v32, v169
	v_mul_f32_e32 v32, v7, v140
	v_mul_f32_e32 v7, v9, v134
	v_add_nc_u32_e32 v5, 0x1000, v167
	v_fmac_f32_e32 v32, v6, v139
	v_mul_f32_e32 v6, v2, v144
	v_mul_f32_e32 v2, v13, v142
	v_fmac_f32_e32 v7, v8, v133
	v_add_nc_u32_e32 v4, 0x1400, v167
	v_fma_f32 v35, v3, v143, -v6
	v_mul_f32_e32 v3, v12, v142
	v_fmac_f32_e32 v2, v12, v141
	v_mul_f32_e32 v12, v17, v126
	ds_write_b64 v167, v[34:35] offset:4080
	ds_write2_b64 v167, v[32:33], v[36:37] offset1:68
	v_fma_f32 v3, v13, v141, -v3
	v_mul_f32_e32 v13, v8, v134
	v_fmac_f32_e32 v12, v16, v125
	v_add_nc_u32_e32 v6, 0x800, v167
	ds_write2_b64 v5, v[2:3], v[10:11] offset0:66 offset1:134
	v_fma_f32 v8, v9, v133, -v13
	v_fma_f32 v13, v17, v125, -v14
	v_mul_f32_e32 v3, v18, v132
	v_mul_f32_e32 v9, v21, v119
	;; [unrolled: 1-line block ×4, first 2 shown]
	ds_write2_b64 v167, v[7:8], v[12:13] offset0:136 offset1:204
	v_mul_f32_e32 v8, v20, v119
	v_mul_f32_e32 v7, v23, v124
	s_waitcnt vmcnt(2)
	v_mul_f32_e32 v12, v28, v128
	v_mul_f32_e32 v13, v25, v121
	;; [unrolled: 1-line block ×3, first 2 shown]
	v_fma_f32 v10, v21, v118, -v8
	v_mul_f32_e32 v8, v22, v124
	v_fma_f32 v3, v19, v131, -v3
	v_fmac_f32_e32 v9, v20, v118
	v_fma_f32 v14, v25, v120, -v11
	v_mul_f32_e32 v11, v26, v117
	v_fmac_f32_e32 v2, v18, v131
	v_fmac_f32_e32 v7, v22, v123
	v_fma_f32 v8, v23, v123, -v8
	v_fma_f32 v18, v29, v127, -v12
	v_add_nc_u32_e32 v12, 0x1800, v167
	v_fmac_f32_e32 v13, v24, v120
	v_fmac_f32_e32 v17, v28, v127
	v_fma_f32 v16, v27, v116, -v11
	s_waitcnt vmcnt(0)
	v_mul_f32_e32 v19, v31, v130
	v_mul_f32_e32 v20, v30, v130
	v_fmac_f32_e32 v19, v30, v129
	v_fma_f32 v20, v31, v129, -v20
	ds_write2_b64 v4, v[2:3], v[7:8] offset0:74 offset1:142
	ds_write2_b64 v6, v[9:10], v[13:14] offset0:16 offset1:84
	ds_write_b64 v167, v[17:18] offset:3264
	ds_write2_b64 v12, v[15:16], v[19:20] offset0:82 offset1:150
	s_and_saveexec_b32 s2, vcc_lo
	s_cbranch_execz .LBB0_3
; %bb.2:
	v_add_co_u32 v0, s0, v0, s0
	v_add_co_ci_u32_e64 v1, s0, s1, v1, s0
	v_add_co_u32 v2, s0, v0, s12
	v_add_co_ci_u32_e64 v3, s0, s13, v1, s0
	global_load_dwordx2 v[0:1], v[0:1], off
	s_clause 0x1
	buffer_load_dword v7, off, s[16:19], 0 offset:8
	buffer_load_dword v8, off, s[16:19], 0 offset:12
	s_waitcnt vmcnt(0)
	global_load_dwordx2 v[7:8], v[7:8], off offset:1760
	s_clause 0x1
	buffer_load_dword v9, off, s[16:19], 0
	buffer_load_dword v10, off, s[16:19], 0 offset:4
	s_waitcnt vmcnt(0)
	global_load_dwordx2 v[9:10], v[9:10], off offset:1744
	global_load_dwordx2 v[2:3], v[2:3], off
	v_mul_f32_e32 v13, v1, v8
	v_mul_f32_e32 v11, v0, v8
	v_fmac_f32_e32 v13, v0, v7
	v_fma_f32 v14, v1, v7, -v11
	s_waitcnt vmcnt(0)
	v_mul_f32_e32 v8, v3, v10
	v_mul_f32_e32 v10, v2, v10
	v_fmac_f32_e32 v8, v2, v9
	v_fma_f32 v9, v3, v9, -v10
	ds_write_b64 v167, v[13:14] offset:3808
	ds_write_b64 v167, v[8:9] offset:7888
.LBB0_3:
	s_or_b32 exec_lo, exec_lo, s2
	s_waitcnt lgkmcnt(0)
	s_waitcnt_vscnt null, 0x0
	s_barrier
	buffer_gl0_inv
	ds_read2_b64 v[16:19], v167 offset1:68
	ds_read2_b64 v[0:3], v6 offset0:152 offset1:254
	ds_read2_b64 v[24:27], v5 offset0:66 offset1:134
	;; [unrolled: 1-line block ×6, first 2 shown]
                                        ; implicit-def: $vgpr30
                                        ; implicit-def: $vgpr28
	s_and_saveexec_b32 s0, vcc_lo
	s_cbranch_execz .LBB0_5
; %bb.4:
	ds_read_b64 v[28:29], v167 offset:3808
	ds_read_b64 v[30:31], v167 offset:7888
.LBB0_5:
	s_or_b32 exec_lo, exec_lo, s0
	s_load_dwordx2 s[2:3], s[4:5], 0x8
	v_add_co_u32 v68, s0, 0x44, v168
	v_add_co_ci_u32_e64 v32, null, 0, 0, s0
	v_add_co_u32 v70, s0, 0x154, v168
	v_add_co_u32 v72, null, 0x88, v168
	v_add_co_u32 v66, null, 0xcc, v168
	;; [unrolled: 1-line block ×3, first 2 shown]
	v_add_co_ci_u32_e64 v32, null, 0, 0, s0
	s_waitcnt lgkmcnt(0)
	v_sub_f32_e32 v34, v16, v2
	v_add_co_u32 v71, s0, 0x198, v168
	v_add_co_u32 v69, null, 0x1dc, v168
	v_sub_f32_e32 v35, v17, v3
	v_sub_f32_e32 v38, v18, v24
	;; [unrolled: 1-line block ×15, first 2 shown]
	v_fma_f32 v32, v16, 2.0, -v34
	v_fma_f32 v33, v17, 2.0, -v35
	;; [unrolled: 1-line block ×16, first 2 shown]
	v_lshl_add_u32 v248, v168, 4, v169
	v_lshl_add_u32 v254, v68, 4, v169
	;; [unrolled: 1-line block ×8, first 2 shown]
	v_add_co_ci_u32_e64 v2, null, 0, 0, s0
	s_barrier
	buffer_gl0_inv
	ds_write_b128 v248, v[32:35]
	ds_write_b128 v254, v[36:39]
	;; [unrolled: 1-line block ×7, first 2 shown]
	s_and_saveexec_b32 s0, vcc_lo
	s_cbranch_execz .LBB0_7
; %bb.6:
	ds_write_b128 v249, v[56:59]
.LBB0_7:
	s_or_b32 exec_lo, exec_lo, s0
	v_cmp_gt_u16_e64 s0, 60, v168
	s_waitcnt lgkmcnt(0)
	s_barrier
	buffer_gl0_inv
                                        ; implicit-def: $vgpr64
	s_and_saveexec_b32 s1, s0
	s_cbranch_execz .LBB0_9
; %bb.8:
	v_add_nc_u32_e32 v0, 0x400, v167
	v_add_nc_u32_e32 v1, 0x800, v167
	;; [unrolled: 1-line block ×3, first 2 shown]
	ds_read2_b64 v[32:35], v167 offset1:60
	ds_read2_b64 v[36:39], v167 offset0:120 offset1:180
	v_add_nc_u32_e32 v3, 0x1400, v167
	ds_read2_b64 v[40:43], v0 offset0:112 offset1:172
	v_add_nc_u32_e32 v0, 0x1000, v167
	v_add_nc_u32_e32 v4, 0x1800, v167
	ds_read2_b64 v[44:47], v1 offset0:104 offset1:164
	ds_read2_b64 v[48:51], v2 offset0:96 offset1:156
	;; [unrolled: 1-line block ×5, first 2 shown]
	ds_read_b64 v[64:65], v167 offset:7680
.LBB0_9:
	s_or_b32 exec_lo, exec_lo, s1
	v_and_b32_e32 v0, 1, v168
	v_lshlrev_b32_e32 v0, 7, v0
	s_clause 0x7
	global_load_dwordx4 v[28:31], v0, s[2:3]
	global_load_dwordx4 v[20:23], v0, s[2:3] offset:16
	global_load_dwordx4 v[16:19], v0, s[2:3] offset:32
	;; [unrolled: 1-line block ×7, first 2 shown]
	s_waitcnt vmcnt(0) lgkmcnt(0)
	s_barrier
	buffer_gl0_inv
	v_mul_f32_e32 v90, v35, v29
	v_mul_f32_e32 v164, v34, v29
	;; [unrolled: 1-line block ×6, first 2 shown]
	v_fma_f32 v181, v34, v28, -v90
	v_mul_f32_e32 v105, v65, v3
	v_mul_f32_e32 v89, v64, v3
	;; [unrolled: 1-line block ×4, first 2 shown]
	v_fmac_f32_e32 v164, v35, v28
	v_fmac_f32_e32 v80, v47, v8
	v_fma_f32 v47, v64, v2, -v105
	v_fmac_f32_e32 v89, v65, v2
	v_mul_f32_e32 v92, v39, v21
	v_mul_f32_e32 v74, v38, v21
	;; [unrolled: 1-line block ×6, first 2 shown]
	v_fma_f32 v90, v36, v30, -v91
	v_fmac_f32_e32 v73, v37, v30
	v_fma_f32 v177, v58, v0, -v104
	v_fmac_f32_e32 v88, v59, v0
	v_sub_f32_e32 v199, v181, v47
	v_sub_f32_e32 v197, v164, v89
	v_mul_f32_e32 v93, v41, v23
	v_mul_f32_e32 v75, v40, v23
	;; [unrolled: 1-line block ×13, first 2 shown]
	v_fma_f32 v91, v38, v20, -v92
	v_fmac_f32_e32 v74, v39, v20
	v_fmac_f32_e32 v77, v45, v18
	v_fma_f32 v45, v50, v24, -v98
	v_fma_f32 v50, v56, v6, -v103
	v_fmac_f32_e32 v87, v57, v6
	v_add_f32_e32 v196, v181, v47
	v_add_f32_e32 v198, v164, v89
	v_sub_f32_e32 v65, v90, v177
	v_sub_f32_e32 v64, v73, v88
	v_mul_f32_e32 v200, 0xbeb8f4ab, v197
	v_mul_f32_e32 v201, 0xbeb8f4ab, v199
	;; [unrolled: 1-line block ×7, first 2 shown]
	v_fma_f32 v92, v40, v22, -v93
	v_fmac_f32_e32 v75, v41, v22
	v_fma_f32 v41, v42, v16, -v94
	v_fmac_f32_e32 v76, v43, v16
	v_fma_f32 v42, v44, v18, -v95
	v_fma_f32 v43, v46, v8, -v96
	;; [unrolled: 1-line block ×3, first 2 shown]
	v_fmac_f32_e32 v81, v49, v10
	v_fma_f32 v46, v52, v26, -v99
	v_fma_f32 v48, v60, v14, -v101
	v_fmac_f32_e32 v85, v61, v14
	v_fma_f32 v49, v62, v4, -v102
	v_fmac_f32_e32 v86, v63, v4
	v_add_f32_e32 v34, v90, v177
	v_add_f32_e32 v35, v73, v88
	v_sub_f32_e32 v94, v91, v50
	v_sub_f32_e32 v93, v74, v87
	v_mul_f32_e32 v160, 0xbf2c7751, v64
	v_mul_f32_e32 v98, 0xbf2c7751, v65
	;; [unrolled: 1-line block ×6, first 2 shown]
	v_fmamk_f32 v60, v196, 0x3f6eb680, v200
	v_fma_f32 v61, 0x3f6eb680, v198, -v201
	v_fmamk_f32 v216, v196, 0x3f3d2fb0, v202
	v_fma_f32 v218, 0x3f3d2fb0, v198, -v203
	;; [unrolled: 2-line block ×3, first 2 shown]
	v_mul_f32_e32 v84, v54, v13
	v_fmac_f32_e32 v82, v51, v24
	v_fma_f32 v51, v54, v12, -v100
	v_add_f32_e32 v36, v91, v50
	v_add_f32_e32 v38, v74, v87
	v_sub_f32_e32 v102, v92, v49
	v_sub_f32_e32 v95, v75, v86
	v_mul_f32_e32 v159, 0xbf65296c, v93
	v_mul_f32_e32 v188, 0xbf65296c, v94
	;; [unrolled: 1-line block ×6, first 2 shown]
	v_fmamk_f32 v62, v34, 0x3f3d2fb0, v160
	v_fma_f32 v63, 0x3f3d2fb0, v35, -v98
	v_fmamk_f32 v217, v34, 0x3dbcf732, v99
	v_fma_f32 v219, 0x3dbcf732, v35, -v108
	;; [unrolled: 2-line block ×3, first 2 shown]
	v_add_f32_e32 v60, v32, v60
	v_add_f32_e32 v61, v33, v61
	;; [unrolled: 1-line block ×6, first 2 shown]
	v_mul_f32_e32 v83, v52, v27
	v_fmac_f32_e32 v84, v55, v12
	v_add_f32_e32 v37, v92, v49
	v_add_f32_e32 v40, v75, v86
	v_sub_f32_e32 v145, v41, v48
	v_sub_f32_e32 v105, v76, v85
	v_mul_f32_e32 v156, 0xbf7ee86f, v95
	v_mul_f32_e32 v166, 0xbf7ee86f, v102
	;; [unrolled: 1-line block ×6, first 2 shown]
	v_fmamk_f32 v161, v36, 0x3ee437d1, v159
	v_fma_f32 v162, 0x3ee437d1, v38, -v188
	v_fmamk_f32 v220, v36, 0xbf1a4643, v100
	v_fma_f32 v221, 0xbf1a4643, v38, -v110
	;; [unrolled: 2-line block ×3, first 2 shown]
	v_add_f32_e32 v60, v62, v60
	v_add_f32_e32 v61, v63, v61
	;; [unrolled: 1-line block ×6, first 2 shown]
	v_fmac_f32_e32 v83, v53, v26
	v_add_f32_e32 v52, v41, v48
	v_add_f32_e32 v54, v76, v85
	v_sub_f32_e32 v146, v77, v84
	v_sub_f32_e32 v148, v42, v51
	v_mul_f32_e32 v155, 0xbf763a35, v105
	v_mul_f32_e32 v165, 0xbf763a35, v145
	v_mul_f32_e32 v103, 0x3f06c442, v105
	v_mul_f32_e32 v171, 0x3f06c442, v145
	v_mul_f32_e32 v191, 0x3f2c7751, v105
	v_mul_f32_e32 v114, 0x3f2c7751, v145
	v_fmamk_f32 v206, v37, 0x3dbcf732, v156
	v_fma_f32 v207, 0x3dbcf732, v40, -v166
	v_fmamk_f32 v222, v37, 0xbf7ba420, v101
	v_fma_f32 v223, 0xbf7ba420, v40, -v97
	v_fmamk_f32 v238, v37, 0xbe8c1d8e, v190
	v_fma_f32 v239, 0xbe8c1d8e, v40, -v112
	v_add_f32_e32 v60, v161, v60
	v_add_f32_e32 v61, v162, v61
	v_add_f32_e32 v62, v220, v62
	v_add_f32_e32 v63, v221, v63
	v_add_f32_e32 v161, v236, v216
	v_add_f32_e32 v162, v237, v217
	v_add_f32_e32 v53, v42, v51
	v_add_f32_e32 v55, v77, v84
	v_sub_f32_e32 v152, v80, v83
	v_sub_f32_e32 v157, v43, v46
	v_mul_f32_e32 v154, 0xbf4c4adb, v146
	v_mul_f32_e32 v163, 0xbf4c4adb, v148
	v_mul_f32_e32 v104, 0x3f763a35, v146
	v_mul_f32_e32 v189, 0x3f763a35, v148
	v_mul_f32_e32 v192, 0xbeb8f4ab, v146
	v_mul_f32_e32 v115, 0xbeb8f4ab, v148
	v_fmamk_f32 v208, v52, 0xbe8c1d8e, v155
	v_fma_f32 v209, 0xbe8c1d8e, v54, -v165
	v_fmamk_f32 v224, v52, 0xbf59a7d5, v103
	v_fma_f32 v225, 0xbf59a7d5, v54, -v171
	v_fmamk_f32 v240, v52, 0x3f3d2fb0, v191
	v_fma_f32 v241, 0x3f3d2fb0, v54, -v114
	v_add_f32_e32 v60, v206, v60
	v_add_f32_e32 v61, v207, v61
	v_add_f32_e32 v62, v222, v62
	v_add_f32_e32 v63, v223, v63
	v_add_f32_e32 v161, v238, v161
	v_add_f32_e32 v162, v239, v162
	;; [unrolled: 22-line block ×3, first 2 shown]
	v_add_f32_e32 v58, v44, v45
	v_add_f32_e32 v59, v81, v82
	v_mul_f32_e32 v150, 0xbe3c28d5, v179
	v_mul_f32_e32 v153, 0xbe3c28d5, v180
	;; [unrolled: 1-line block ×6, first 2 shown]
	v_fmamk_f32 v212, v56, 0xbf59a7d5, v151
	v_fma_f32 v213, 0xbf59a7d5, v57, -v158
	v_fmamk_f32 v228, v56, 0x3ee437d1, v106
	v_fma_f32 v229, 0x3ee437d1, v57, -v96
	v_fmamk_f32 v244, v56, 0x3dbcf732, v175
	v_fma_f32 v245, 0x3dbcf732, v57, -v113
	v_add_f32_e32 v60, v210, v60
	v_add_f32_e32 v61, v211, v61
	;; [unrolled: 1-line block ×6, first 2 shown]
	v_fmamk_f32 v214, v58, 0xbf7ba420, v150
	v_fma_f32 v215, 0xbf7ba420, v59, -v153
	v_fmamk_f32 v230, v58, 0x3f6eb680, v107
	v_fma_f32 v231, 0x3f6eb680, v59, -v109
	;; [unrolled: 2-line block ×3, first 2 shown]
	v_add_f32_e32 v60, v212, v60
	v_add_f32_e32 v61, v213, v61
	;; [unrolled: 1-line block ×12, first 2 shown]
	s_and_saveexec_b32 s1, s0
	s_cbranch_execz .LBB0_11
; %bb.10:
	v_mul_f32_e32 v206, 0x3ee437d1, v198
	v_mul_f32_e32 v208, 0xbe8c1d8e, v198
	;; [unrolled: 1-line block ×5, first 2 shown]
	v_add_f32_e32 v205, v205, v206
	v_mul_f32_e32 v206, 0x3ee437d1, v196
	v_fmamk_f32 v209, v199, 0x3f763a35, v208
	v_fmac_f32_e32 v208, 0xbf763a35, v199
	v_fmamk_f32 v212, v198, 0xbf7ba420, v210
	v_fma_f32 v210, 0xbf7ba420, v198, -v210
	v_sub_f32_e32 v204, v206, v204
	v_mul_f32_e32 v206, 0x3f3d2fb0, v198
	v_fmamk_f32 v213, v198, 0xbf1a4643, v211
	v_fma_f32 v211, 0xbf1a4643, v198, -v211
	v_mul_f32_e32 v218, 0xbe3c28d5, v197
	v_mul_f32_e32 v219, 0xbf4c4adb, v197
	v_add_f32_e32 v203, v203, v206
	v_mul_f32_e32 v206, 0x3f3d2fb0, v196
	v_fmamk_f32 v217, v196, 0xbe8c1d8e, v216
	v_fma_f32 v216, 0xbe8c1d8e, v196, -v216
	v_fma_f32 v220, 0xbf7ba420, v196, -v218
	v_fmac_f32_e32 v218, 0xbf7ba420, v196
	v_sub_f32_e32 v202, v206, v202
	v_mul_f32_e32 v206, 0x3f6eb680, v198
	v_fma_f32 v221, 0xbf1a4643, v196, -v219
	v_fmac_f32_e32 v219, 0xbf1a4643, v196
	v_add_f32_e32 v216, v32, v216
	v_add_f32_e32 v224, v32, v204
	v_add_f32_e32 v201, v201, v206
	v_mul_f32_e32 v206, 0x3f6eb680, v196
	v_add_f32_e32 v221, v32, v221
	v_add_f32_e32 v226, v32, v202
	;; [unrolled: 1-line block ×4, first 2 shown]
	v_sub_f32_e32 v200, v206, v200
	v_mul_f32_e32 v206, 0xbf59a7d5, v198
	v_add_f32_e32 v219, v32, v219
	v_mul_f32_e32 v204, 0xbf59a7d5, v35
	v_add_f32_e32 v212, v33, v212
	v_add_f32_e32 v228, v32, v200
	v_fmamk_f32 v207, v199, 0x3f06c442, v206
	v_fmac_f32_e32 v206, 0xbf06c442, v199
	v_mul_f32_e32 v199, 0xbf7ee86f, v199
	v_add_f32_e32 v213, v33, v213
	v_add_f32_e32 v208, v33, v208
	;; [unrolled: 1-line block ×4, first 2 shown]
	v_fmamk_f32 v214, v198, 0x3dbcf732, v199
	v_fma_f32 v198, 0x3dbcf732, v198, -v199
	v_mul_f32_e32 v199, 0xbf06c442, v197
	v_mul_f32_e32 v197, 0xbf7ee86f, v197
	v_add_f32_e32 v223, v33, v205
	v_add_f32_e32 v214, v33, v214
	;; [unrolled: 1-line block ×3, first 2 shown]
	v_fmamk_f32 v215, v196, 0xbf59a7d5, v199
	v_fma_f32 v199, 0xbf59a7d5, v196, -v199
	v_fma_f32 v222, 0x3dbcf732, v196, -v197
	v_fmac_f32_e32 v197, 0x3dbcf732, v196
	v_add_f32_e32 v196, v33, v209
	v_add_f32_e32 v209, v32, v217
	v_add_f32_e32 v215, v32, v215
	v_add_f32_e32 v217, v32, v220
	v_add_f32_e32 v220, v32, v199
	v_add_f32_e32 v222, v32, v222
	v_add_f32_e32 v32, v32, v197
	v_add_f32_e32 v164, v33, v164
	v_add_f32_e32 v227, v33, v201
	v_add_f32_e32 v229, v33, v210
	v_add_f32_e32 v230, v33, v211
	v_add_f32_e32 v33, v33, v198
	buffer_store_dword v32, off, s[16:19], 0 offset:16 ; 4-byte Folded Spill
	v_fmamk_f32 v32, v65, 0xbf06c442, v204
	v_mul_f32_e32 v205, 0x3f3d2fb0, v38
	v_mul_f32_e32 v231, 0x3ee437d1, v40
	buffer_store_dword v33, off, s[16:19], 0 offset:20 ; 4-byte Folded Spill
	v_mul_f32_e32 v232, 0xbf7ba420, v54
	v_add_f32_e32 v32, v32, v196
	v_fmamk_f32 v33, v94, 0xbf2c7751, v205
	v_mul_f32_e32 v233, 0x3dbcf732, v55
	v_mul_f32_e32 v234, 0x3f06c442, v64
	v_mul_f32_e32 v235, 0x3f2c7751, v93
	v_mul_f32_e32 v236, 0xbf65296c, v95
	v_add_f32_e32 v32, v33, v32
	v_fmamk_f32 v33, v102, 0x3f65296c, v231
	v_mul_f32_e32 v237, 0xbe3c28d5, v105
	v_mul_f32_e32 v238, 0x3f7ee86f, v146
	v_mul_f32_e32 v239, 0xbeb8f4ab, v152
	;; [unrolled: 6-line block ×3, first 2 shown]
	v_mul_f32_e32 v202, 0xbf1a4643, v40
	v_add_f32_e32 v32, v33, v32
	v_fmamk_f32 v33, v148, 0xbf7ee86f, v233
	v_mul_f32_e32 v203, 0x3f6eb680, v54
	v_fmamk_f32 v197, v94, 0x3f7ee86f, v201
	v_mul_f32_e32 v242, 0x3f65296c, v64
	v_mul_f32_e32 v243, 0xbf7ee86f, v93
	v_add_f32_e32 v32, v33, v32
	v_fmamk_f32 v33, v34, 0xbf59a7d5, v234
	v_mul_f32_e32 v244, 0x3f4c4adb, v95
	v_mul_f32_e32 v245, 0xbeb8f4ab, v105
	;; [unrolled: 1-line block ×4, first 2 shown]
	v_add_f32_e32 v33, v33, v209
	v_mul_f32_e32 v209, 0x3f6eb680, v57
	v_mov_b32_e32 v210, v178
	v_mov_b32_e32 v178, v248
	v_mul_f32_e32 v248, 0xbe8c1d8e, v59
	v_mov_b32_e32 v211, v249
	v_fmamk_f32 v196, v157, 0x3eb8f4ab, v209
	v_mul_f32_e32 v249, 0xbf763a35, v179
	v_mov_b32_e32 v39, v45
	v_mov_b32_e32 v45, v250
	v_mul_f32_e32 v250, 0x3eb8f4ab, v65
	v_add_f32_e32 v32, v196, v32
	v_fmamk_f32 v196, v36, 0x3f3d2fb0, v235
	v_mov_b32_e32 v185, v251
	v_mul_f32_e32 v251, 0x3f2c7751, v102
	v_mov_b32_e32 v186, v252
	v_mul_f32_e32 v252, 0xbf4c4adb, v145
	v_add_f32_e32 v33, v196, v33
	v_fmamk_f32 v196, v37, 0x3ee437d1, v236
	v_mov_b32_e32 v187, v253
	v_mul_f32_e32 v253, 0x3f65296c, v148
	v_mov_b32_e32 v195, v254
	v_mul_f32_e32 v254, 0x3eb8f4ab, v64
	v_add_f32_e32 v33, v196, v33
	v_fmamk_f32 v196, v52, 0xbf7ba420, v237
	v_mul_f32_e32 v170, 0x3f2c7751, v95
	v_mov_b32_e32 v149, v171
	v_mul_f32_e32 v171, 0xbf4c4adb, v105
	v_mov_b32_e32 v147, v172
	v_add_f32_e32 v33, v196, v33
	v_fmamk_f32 v196, v53, 0x3dbcf732, v238
	v_mul_f32_e32 v172, 0x3f65296c, v146
	v_mul_f32_e32 v173, 0xbf763a35, v152
	;; [unrolled: 1-line block ×4, first 2 shown]
	v_add_f32_e32 v33, v196, v33
	v_fmamk_f32 v196, v56, 0x3f6eb680, v239
	v_fmac_f32_e32 v201, 0xbf7ee86f, v94
	v_fmac_f32_e32 v204, 0x3f06c442, v65
	;; [unrolled: 1-line block ×4, first 2 shown]
	v_add_f32_e32 v196, v196, v33
	v_fmamk_f32 v33, v180, 0x3f4c4adb, v240
	v_add_f32_e32 v204, v204, v208
	v_fma_f32 v208, 0x3f3d2fb0, v36, -v235
	v_fmac_f32_e32 v232, 0xbe3c28d5, v145
	v_fmac_f32_e32 v233, 0x3f7ee86f, v148
	v_add_f32_e32 v33, v33, v32
	v_fmamk_f32 v32, v58, 0xbf1a4643, v241
	v_add_f32_e32 v204, v205, v204
	v_fma_f32 v205, 0xbf59a7d5, v34, -v234
	v_fmac_f32_e32 v209, 0xbeb8f4ab, v157
	v_fmac_f32_e32 v240, 0xbf4c4adb, v180
	v_add_f32_e32 v32, v32, v196
	v_fmamk_f32 v196, v65, 0xbf65296c, v200
	v_fmac_f32_e32 v200, 0x3f65296c, v65
	v_add_f32_e32 v205, v205, v216
	v_add_f32_e32 v204, v231, v204
	v_mul_f32_e32 v216, 0xbe3c28d5, v64
	v_add_f32_e32 v196, v196, v207
	v_mul_f32_e32 v207, 0xbf7ba420, v55
	v_add_f32_e32 v205, v208, v205
	v_fma_f32 v208, 0x3ee437d1, v37, -v236
	v_add_f32_e32 v204, v232, v204
	v_add_f32_e32 v196, v197, v196
	v_fmamk_f32 v197, v102, 0xbf4c4adb, v202
	v_fmac_f32_e32 v202, 0x3f4c4adb, v102
	v_add_f32_e32 v205, v208, v205
	v_fma_f32 v208, 0xbf7ba420, v52, -v237
	v_add_f32_e32 v204, v233, v204
	v_add_f32_e32 v196, v197, v196
	v_fmamk_f32 v197, v145, 0x3eb8f4ab, v203
	v_fmac_f32_e32 v203, 0xbeb8f4ab, v145
	;; [unrolled: 6-line block ×3, first 2 shown]
	v_add_f32_e32 v205, v208, v205
	v_fma_f32 v208, 0x3f6eb680, v56, -v239
	v_fma_f32 v209, 0xbf1a4643, v58, -v241
	v_add_f32_e32 v196, v197, v196
	v_fmamk_f32 v197, v34, 0x3ee437d1, v242
	v_mul_f32_e32 v231, 0x3eb8f4ab, v95
	v_add_f32_e32 v208, v208, v205
	v_add_f32_e32 v205, v240, v204
	v_mul_f32_e32 v232, 0xbf06c442, v146
	v_add_f32_e32 v197, v197, v215
	v_mul_f32_e32 v215, 0x3f3d2fb0, v57
	;; [unrolled: 2-line block ×3, first 2 shown]
	v_mul_f32_e32 v209, 0x3f763a35, v94
	v_add_f32_e32 v73, v164, v73
	v_fmamk_f32 v198, v157, 0xbf2c7751, v215
	v_fmac_f32_e32 v215, 0x3f2c7751, v157
	v_add_f32_e32 v90, v181, v90
	v_add_f32_e32 v73, v73, v74
	v_add_f32_e32 v196, v198, v196
	v_fmamk_f32 v198, v36, 0x3dbcf732, v243
	v_add_f32_e32 v74, v90, v91
	v_add_f32_e32 v73, v73, v75
	v_add_f32_e32 v197, v198, v197
	v_fmamk_f32 v198, v37, 0xbf1a4643, v244
	;; [unrolled: 4-line block ×6, first 2 shown]
	v_fmac_f32_e32 v248, 0xbf763a35, v180
	v_add_f32_e32 v41, v41, v44
	v_fma_f32 v44, 0xbf1a4643, v54, -v252
	v_add_f32_e32 v42, v42, v82
	v_add_f32_e32 v197, v197, v196
	v_fmamk_f32 v196, v58, 0xbe8c1d8e, v249
	v_add_f32_e32 v41, v41, v39
	v_fma_f32 v39, 0x3f6eb680, v35, -v250
	v_add_f32_e32 v42, v42, v83
	v_add_f32_e32 v196, v196, v198
	v_fmamk_f32 v198, v35, 0x3f6eb680, v250
	v_add_f32_e32 v39, v39, v229
	v_mov_b32_e32 v250, v45
	v_add_f32_e32 v41, v41, v46
	v_add_f32_e32 v42, v42, v84
	;; [unrolled: 1-line block ×3, first 2 shown]
	v_mul_f32_e32 v212, 0xbf06c442, v94
	v_add_f32_e32 v41, v41, v51
	v_add_f32_e32 v42, v42, v85
	v_fmamk_f32 v199, v38, 0xbf59a7d5, v212
	v_fma_f32 v43, 0xbf59a7d5, v38, -v212
	v_add_f32_e32 v41, v41, v48
	v_add_f32_e32 v42, v42, v86
	;; [unrolled: 1-line block ×3, first 2 shown]
	v_fmamk_f32 v199, v40, 0x3f3d2fb0, v251
	v_add_f32_e32 v39, v43, v39
	v_fma_f32 v43, 0x3f3d2fb0, v40, -v251
	v_add_f32_e32 v41, v41, v49
	v_add_f32_e32 v42, v42, v87
	;; [unrolled: 1-line block ×3, first 2 shown]
	v_fmamk_f32 v199, v54, 0xbf1a4643, v252
	v_add_f32_e32 v39, v43, v39
	v_add_f32_e32 v41, v41, v50
	;; [unrolled: 1-line block ×3, first 2 shown]
	v_mov_b32_e32 v251, v185
	v_add_f32_e32 v198, v199, v198
	v_fmamk_f32 v199, v55, 0x3ee437d1, v253
	v_add_f32_e32 v39, v44, v39
	v_fma_f32 v44, 0x3ee437d1, v55, -v253
	v_add_f32_e32 v41, v41, v177
	v_add_f32_e32 v42, v42, v89
	;; [unrolled: 1-line block ×3, first 2 shown]
	v_fma_f32 v199, 0x3f6eb680, v34, -v254
	v_add_f32_e32 v39, v44, v39
	v_fmac_f32_e32 v254, 0x3f6eb680, v34
	v_add_f32_e32 v41, v41, v47
	v_mov_b32_e32 v252, v186
	v_add_f32_e32 v199, v199, v217
	v_mul_f32_e32 v217, 0xbf763a35, v157
	v_add_f32_e32 v43, v254, v218
	v_mov_b32_e32 v253, v187
	v_mov_b32_e32 v254, v195
	v_fmamk_f32 v255, v57, 0xbe8c1d8e, v217
	v_fma_f32 v44, 0xbe8c1d8e, v57, -v217
	v_add_f32_e32 v198, v255, v198
	v_mul_f32_e32 v255, 0xbf06c442, v93
	v_add_f32_e32 v39, v44, v39
	v_fma_f32 v174, 0xbf59a7d5, v36, -v255
	v_fmac_f32_e32 v255, 0xbf59a7d5, v36
	v_add_f32_e32 v174, v174, v199
	v_fma_f32 v199, 0x3f3d2fb0, v37, -v170
	v_add_f32_e32 v43, v255, v43
	v_fmac_f32_e32 v170, 0x3f3d2fb0, v37
	v_add_f32_e32 v174, v199, v174
	v_fma_f32 v199, 0xbf1a4643, v52, -v171
	v_add_f32_e32 v43, v170, v43
	;; [unrolled: 4-line block ×4, first 2 shown]
	v_fmac_f32_e32 v173, 0xbe8c1d8e, v56
	v_add_f32_e32 v174, v199, v174
	v_fmamk_f32 v199, v59, 0x3dbcf732, v193
	v_add_f32_e32 v43, v173, v43
	v_add_f32_e32 v199, v199, v198
	v_fma_f32 v198, 0x3dbcf732, v58, -v176
	v_fmac_f32_e32 v176, 0x3dbcf732, v58
	v_add_f32_e32 v198, v198, v174
	v_add_f32_e32 v174, v200, v206
	v_fma_f32 v200, 0x3ee437d1, v34, -v242
	v_mul_f32_e32 v206, 0xbeb8f4ab, v94
	v_fmamk_f32 v94, v38, 0xbe8c1d8e, v209
	v_add_f32_e32 v43, v176, v43
	v_add_f32_e32 v174, v201, v174
	;; [unrolled: 1-line block ×3, first 2 shown]
	v_fma_f32 v201, 0x3dbcf732, v36, -v243
	v_mul_f32_e32 v220, 0xbf2c7751, v148
	v_mul_f32_e32 v148, 0xbf06c442, v148
	v_add_f32_e32 v174, v202, v174
	v_fma_f32 v202, 0xbe8c1d8e, v58, -v249
	v_add_f32_e32 v200, v201, v200
	v_fma_f32 v201, 0xbf1a4643, v37, -v244
	v_mul_f32_e32 v249, 0x3f65296c, v179
	v_add_f32_e32 v174, v203, v174
	v_fmamk_f32 v203, v38, 0x3f6eb680, v206
	v_mul_f32_e32 v179, 0x3f2c7751, v179
	v_add_f32_e32 v200, v201, v200
	v_fma_f32 v201, 0x3f6eb680, v52, -v245
	v_add_f32_e32 v174, v207, v174
	v_mul_f32_e32 v207, 0xbf06c442, v102
	v_mul_f32_e32 v102, 0x3eb8f4ab, v102
	v_fma_f32 v45, 0x3f6eb680, v38, -v206
	v_add_f32_e32 v200, v201, v200
	v_fma_f32 v201, 0xbf7ba420, v53, -v246
	v_add_f32_e32 v174, v215, v174
	v_mul_f32_e32 v215, 0x3f763a35, v64
	v_fma_f32 v64, 0xbf7ba420, v34, -v216
	v_fmac_f32_e32 v216, 0xbf7ba420, v34
	v_add_f32_e32 v200, v201, v200
	v_fma_f32 v201, 0x3f3d2fb0, v56, -v247
	v_add_f32_e32 v64, v64, v222
	v_mul_f32_e32 v222, 0x3f763a35, v93
	v_add_f32_e32 v200, v201, v200
	v_add_f32_e32 v201, v248, v174
	v_mul_f32_e32 v174, 0x3f763a35, v65
	v_fmamk_f32 v65, v35, 0xbf7ba420, v208
	v_mul_f32_e32 v248, 0x3f65296c, v180
	v_add_f32_e32 v200, v202, v200
	v_mul_f32_e32 v180, 0x3f2c7751, v180
	v_fmamk_f32 v202, v35, 0xbe8c1d8e, v174
	v_add_f32_e32 v65, v65, v214
	v_mul_f32_e32 v214, 0xbf65296c, v145
	v_fma_f32 v44, 0xbe8c1d8e, v35, -v174
	v_add_f32_e32 v202, v202, v213
	v_mul_f32_e32 v213, 0x3f7ee86f, v145
	v_add_f32_e32 v65, v94, v65
	v_fmamk_f32 v94, v40, 0x3f6eb680, v102
	v_mul_f32_e32 v145, 0x3f6eb680, v55
	v_add_f32_e32 v202, v203, v202
	v_fmamk_f32 v203, v40, 0xbf59a7d5, v207
	v_add_f32_e32 v44, v44, v230
	v_add_f32_e32 v65, v94, v65
	v_fmamk_f32 v94, v54, 0x3ee437d1, v214
	v_add_f32_e32 v145, v115, v145
	;; [unrolled: 3-line block ×3, first 2 shown]
	v_add_f32_e32 v65, v94, v65
	v_fmamk_f32 v94, v55, 0xbf59a7d5, v148
	v_fma_f32 v45, 0xbf59a7d5, v40, -v207
	v_add_f32_e32 v202, v203, v202
	v_fma_f32 v203, 0xbe8c1d8e, v34, -v215
	v_fmac_f32_e32 v215, 0xbe8c1d8e, v34
	v_add_f32_e32 v65, v94, v65
	v_mul_f32_e32 v94, 0xbf7ba420, v38
	v_add_f32_e32 v44, v45, v44
	v_add_f32_e32 v203, v203, v221
	v_fmamk_f32 v221, v55, 0x3f3d2fb0, v220
	v_fma_f32 v45, 0x3dbcf732, v54, -v213
	v_add_f32_e32 v94, v184, v94
	v_add_f32_e32 v46, v215, v219
	;; [unrolled: 1-line block ×3, first 2 shown]
	v_mul_f32_e32 v221, 0xbeb8f4ab, v93
	v_fma_f32 v93, 0xbe8c1d8e, v36, -v222
	v_add_f32_e32 v45, v45, v44
	v_fma_f32 v44, 0x3dbcf732, v59, -v193
	v_fmac_f32_e32 v222, 0xbe8c1d8e, v36
	v_fma_f32 v242, 0x3f6eb680, v36, -v221
	v_add_f32_e32 v64, v93, v64
	v_fma_f32 v93, 0x3f6eb680, v37, -v231
	v_add_f32_e32 v44, v44, v39
	;; [unrolled: 2-line block ×3, first 2 shown]
	v_mul_f32_e32 v242, 0xbf06c442, v95
	v_add_f32_e32 v64, v93, v64
	v_mul_f32_e32 v95, 0xbf1a4643, v34
	v_fmac_f32_e32 v221, 0x3f6eb680, v36
	v_fmac_f32_e32 v231, 0x3f6eb680, v37
	v_fma_f32 v243, 0xbf59a7d5, v37, -v242
	v_fmac_f32_e32 v242, 0xbf59a7d5, v37
	v_sub_f32_e32 v95, v95, v111
	v_mul_f32_e32 v111, 0x3ee437d1, v38
	v_add_f32_e32 v46, v221, v46
	v_add_f32_e32 v203, v243, v203
	v_mul_f32_e32 v243, 0xbe3c28d5, v157
	v_mul_f32_e32 v157, 0x3f4c4adb, v157
	v_fmamk_f32 v244, v57, 0xbf7ba420, v243
	v_add_f32_e32 v202, v244, v202
	v_mul_f32_e32 v244, 0x3f7ee86f, v105
	v_mul_f32_e32 v105, 0xbf65296c, v105
	v_fma_f32 v245, 0x3dbcf732, v52, -v244
	v_fma_f32 v93, 0x3ee437d1, v52, -v105
	v_fmac_f32_e32 v244, 0x3dbcf732, v52
	v_fmac_f32_e32 v105, 0x3ee437d1, v52
	v_add_f32_e32 v203, v245, v203
	v_mul_f32_e32 v245, 0xbf2c7751, v146
	v_add_f32_e32 v64, v93, v64
	v_fma_f32 v93, 0xbf59a7d5, v53, -v232
	v_fmac_f32_e32 v232, 0xbf59a7d5, v53
	v_fma_f32 v246, 0x3f3d2fb0, v53, -v245
	v_fmac_f32_e32 v245, 0x3f3d2fb0, v53
	v_add_f32_e32 v64, v93, v64
	v_fmamk_f32 v93, v57, 0xbf1a4643, v157
	v_add_f32_e32 v203, v246, v203
	v_mul_f32_e32 v246, 0xbe3c28d5, v152
	v_mul_f32_e32 v152, 0x3f4c4adb, v152
	v_add_f32_e32 v65, v93, v65
	v_fma_f32 v247, 0xbf7ba420, v56, -v246
	v_fma_f32 v93, 0xbf1a4643, v56, -v152
	v_fmac_f32_e32 v246, 0xbf7ba420, v56
	v_fmac_f32_e32 v152, 0xbf1a4643, v56
	v_add_f32_e32 v247, v247, v203
	v_add_f32_e32 v64, v93, v64
	v_fmamk_f32 v93, v59, 0x3f3d2fb0, v180
	v_fmamk_f32 v203, v59, 0x3ee437d1, v248
	v_add_f32_e32 v65, v93, v65
	v_fma_f32 v93, 0x3f3d2fb0, v58, -v179
	v_add_f32_e32 v203, v203, v202
	v_fma_f32 v202, 0x3ee437d1, v58, -v249
	v_fmac_f32_e32 v249, 0x3ee437d1, v58
	v_fmac_f32_e32 v179, 0x3f3d2fb0, v58
	v_add_f32_e32 v64, v93, v64
	v_mul_f32_e32 v93, 0xbf1a4643, v35
	v_add_f32_e32 v202, v202, v247
	v_add_f32_e32 v93, v182, v93
	;; [unrolled: 1-line block ×4, first 2 shown]
	v_mul_f32_e32 v94, 0xbe8c1d8e, v40
	v_add_f32_e32 v94, v112, v94
	v_add_f32_e32 v93, v94, v93
	v_mul_f32_e32 v94, 0x3f3d2fb0, v54
	v_add_f32_e32 v94, v114, v94
	v_add_f32_e32 v93, v94, v93
	;; [unrolled: 1-line block ×3, first 2 shown]
	v_mul_f32_e32 v95, 0xbf7ba420, v36
	v_add_f32_e32 v93, v145, v93
	v_mul_f32_e32 v145, 0x3dbcf732, v57
	v_sub_f32_e32 v95, v95, v147
	v_mul_f32_e32 v147, 0xbf1a4643, v36
	v_add_f32_e32 v145, v113, v145
	v_add_f32_e32 v94, v95, v94
	v_mul_f32_e32 v95, 0xbe8c1d8e, v37
	v_sub_f32_e32 v147, v147, v100
	v_add_f32_e32 v93, v145, v93
	v_mul_f32_e32 v145, 0xbf59a7d5, v59
	v_sub_f32_e32 v95, v95, v190
	v_add_f32_e32 v145, v183, v145
	v_add_f32_e32 v94, v95, v94
	v_mul_f32_e32 v95, 0x3f3d2fb0, v52
	v_sub_f32_e32 v95, v95, v191
	v_add_f32_e32 v94, v95, v94
	v_mul_f32_e32 v95, 0x3f6eb680, v53
	v_sub_f32_e32 v95, v95, v192
	;; [unrolled: 3-line block ×4, first 2 shown]
	v_add_f32_e32 v94, v145, v93
	v_mul_f32_e32 v145, 0xbf1a4643, v38
	v_fma_f32 v38, 0xbe8c1d8e, v38, -v209
	v_add_f32_e32 v93, v146, v95
	v_mul_f32_e32 v95, 0x3dbcf732, v35
	v_add_f32_e32 v145, v110, v145
	v_mul_f32_e32 v146, 0x3dbcf732, v34
	v_add_f32_e32 v110, v188, v111
	v_add_f32_e32 v95, v108, v95
	v_sub_f32_e32 v146, v146, v99
	v_add_f32_e32 v95, v95, v225
	v_add_f32_e32 v146, v146, v226
	;; [unrolled: 1-line block ×3, first 2 shown]
	v_mul_f32_e32 v145, 0xbf7ba420, v40
	v_add_f32_e32 v146, v147, v146
	v_mul_f32_e32 v147, 0xbf7ba420, v37
	v_add_f32_e32 v145, v97, v145
	v_sub_f32_e32 v147, v147, v101
	v_add_f32_e32 v95, v145, v95
	v_mul_f32_e32 v145, 0xbf59a7d5, v54
	v_add_f32_e32 v145, v149, v145
	v_add_f32_e32 v95, v145, v95
	v_mul_f32_e32 v145, 0xbe8c1d8e, v55
	v_add_f32_e32 v145, v189, v145
	v_add_f32_e32 v95, v145, v95
	;; [unrolled: 1-line block ×3, first 2 shown]
	v_mul_f32_e32 v146, 0xbf59a7d5, v52
	v_mul_f32_e32 v147, 0x3ee437d1, v57
	v_sub_f32_e32 v146, v146, v103
	v_add_f32_e32 v147, v96, v147
	v_add_f32_e32 v145, v146, v145
	v_mul_f32_e32 v146, 0xbe8c1d8e, v53
	v_add_f32_e32 v95, v147, v95
	v_mul_f32_e32 v147, 0x3f6eb680, v59
	v_sub_f32_e32 v146, v146, v104
	v_add_f32_e32 v147, v109, v147
	v_add_f32_e32 v145, v146, v145
	v_mul_f32_e32 v146, 0x3ee437d1, v56
	v_sub_f32_e32 v146, v146, v106
	v_add_f32_e32 v145, v146, v145
	v_mul_f32_e32 v146, 0x3f6eb680, v58
	v_sub_f32_e32 v149, v146, v107
	v_add_f32_e32 v146, v147, v95
	v_mul_f32_e32 v95, 0x3f3d2fb0, v35
	v_fma_f32 v35, 0xbf7ba420, v35, -v208
	v_add_f32_e32 v145, v149, v145
	v_add_f32_e32 v95, v98, v95
	;; [unrolled: 1-line block ×4, first 2 shown]
	v_mul_f32_e32 v110, 0x3dbcf732, v40
	v_add_f32_e32 v109, v166, v110
	v_mul_f32_e32 v110, 0x3f3d2fb0, v34
	v_add_f32_e32 v34, v39, v45
	buffer_load_dword v45, off, s[16:19], 0 offset:20 ; 4-byte Folded Reload
	v_add_f32_e32 v39, v242, v46
	v_add_f32_e32 v95, v109, v95
	v_mul_f32_e32 v109, 0xbe8c1d8e, v54
	v_sub_f32_e32 v106, v110, v160
	v_add_f32_e32 v39, v244, v39
	v_add_f32_e32 v108, v165, v109
	v_mul_f32_e32 v109, 0x3ee437d1, v36
	v_add_f32_e32 v106, v106, v228
	v_fma_f32 v36, 0xbf7ba420, v57, -v243
	v_add_f32_e32 v95, v108, v95
	v_sub_f32_e32 v104, v109, v159
	v_mul_f32_e32 v108, 0xbf1a4643, v55
	v_add_f32_e32 v34, v36, v34
	v_add_f32_e32 v36, v245, v39
	v_fma_f32 v39, 0xbf59a7d5, v55, -v148
	v_add_f32_e32 v104, v104, v106
	v_mul_f32_e32 v106, 0x3dbcf732, v37
	v_fma_f32 v37, 0x3ee437d1, v54, -v214
	v_add_f32_e32 v107, v163, v108
	v_add_f32_e32 v36, v246, v36
	v_sub_f32_e32 v101, v106, v156
	v_add_f32_e32 v95, v107, v95
	v_add_f32_e32 v101, v101, v104
	v_mul_f32_e32 v104, 0xbe8c1d8e, v52
	v_sub_f32_e32 v100, v104, v155
	v_mul_f32_e32 v104, 0xbf59a7d5, v57
	v_add_f32_e32 v100, v100, v101
	v_mul_f32_e32 v101, 0xbf1a4643, v53
	v_add_f32_e32 v103, v158, v104
	v_sub_f32_e32 v99, v101, v154
	v_add_f32_e32 v95, v103, v95
	v_add_f32_e32 v99, v99, v100
	v_mul_f32_e32 v100, 0xbf59a7d5, v56
	v_sub_f32_e32 v97, v100, v151
	v_mul_f32_e32 v100, 0xbf7ba420, v59
	v_add_f32_e32 v97, v97, v99
	v_mul_f32_e32 v99, 0xbf7ba420, v58
	v_add_f32_e32 v98, v153, v100
	v_sub_f32_e32 v99, v99, v150
	v_add_f32_e32 v96, v98, v95
	v_add_f32_e32 v95, v99, v97
	s_waitcnt vmcnt(0)
	v_add_f32_e32 v35, v35, v45
	buffer_load_dword v45, off, s[16:19], 0 offset:16 ; 4-byte Folded Reload
	v_add_f32_e32 v35, v38, v35
	v_fma_f32 v38, 0x3f6eb680, v40, -v102
	v_add_f32_e32 v35, v38, v35
	v_add_f32_e32 v35, v37, v35
	v_fma_f32 v37, 0x3ee437d1, v59, -v248
	v_mov_b32_e32 v248, v178
	v_mov_b32_e32 v178, v210
	v_add_f32_e32 v35, v39, v35
	s_waitcnt vmcnt(0)
	v_add_f32_e32 v45, v216, v45
	v_add_f32_e32 v40, v222, v45
	v_and_b32_e32 v45, 1, v168
	v_add_f32_e32 v38, v231, v40
	v_lshrrev_b32_e32 v40, 1, v168
	v_add_f32_e32 v38, v105, v38
	v_mul_u32_u24_e32 v39, 34, v40
	v_fma_f32 v40, 0xbf1a4643, v57, -v157
	v_add_f32_e32 v38, v232, v38
	v_or_b32_e32 v39, v39, v45
	v_add_f32_e32 v40, v40, v35
	v_fma_f32 v45, 0x3f3d2fb0, v59, -v180
	v_add_f32_e32 v35, v37, v34
	v_add_f32_e32 v38, v152, v38
	v_lshl_add_u32 v39, v39, 3, v169
	v_add_f32_e32 v34, v249, v36
	v_mov_b32_e32 v249, v211
	v_add_f32_e32 v37, v45, v40
	v_add_f32_e32 v36, v179, v38
	ds_write2_b64 v39, v[41:42], v[95:96] offset1:2
	ds_write2_b64 v39, v[145:146], v[93:94] offset0:4 offset1:6
	ds_write2_b64 v39, v[64:65], v[204:205] offset0:8 offset1:10
	;; [unrolled: 1-line block ×7, first 2 shown]
	ds_write_b64 v39, v[161:162] offset:256
.LBB0_11:
	s_or_b32 exec_lo, exec_lo, s1
	v_add_nc_u32_e32 v40, 0x800, v167
	v_add_nc_u32_e32 v41, 0x1000, v167
	;; [unrolled: 1-line block ×4, first 2 shown]
	s_waitcnt lgkmcnt(0)
	s_waitcnt_vscnt null, 0x0
	s_barrier
	buffer_gl0_inv
	ds_read2_b64 v[36:39], v167 offset1:68
	ds_read2_b64 v[32:35], v40 offset0:152 offset1:254
	ds_read2_b64 v[56:59], v41 offset0:66 offset1:134
	;; [unrolled: 1-line block ×6, first 2 shown]
	v_lshlrev_b32_e32 v64, 1, v168
	s_and_saveexec_b32 s1, vcc_lo
	s_cbranch_execz .LBB0_13
; %bb.12:
	ds_read_b64 v[60:61], v167 offset:3808
	ds_read_b64 v[62:63], v167 offset:7888
.LBB0_13:
	s_or_b32 exec_lo, exec_lo, s1
	v_add_co_u32 v74, s1, 0xffffffde, v168
	v_add_co_ci_u32_e64 v75, null, 0, -1, s1
	v_and_b32_e32 v73, 0xff, v72
	v_and_b32_e32 v65, 0xff, v68
	v_mov_b32_e32 v80, 0xf0f1
	v_cndmask_b32_e64 v76, v75, 0, vcc_lo
	v_cndmask_b32_e32 v75, v74, v168, vcc_lo
	v_mul_lo_u16 v77, 0xf1, v73
	v_mul_lo_u16 v65, 0xf1, v65
	v_mul_u32_u24_sdwa v74, v66, v80 dst_sel:DWORD dst_unused:UNUSED_PAD src0_sel:WORD_0 src1_sel:DWORD
	v_mul_u32_u24_sdwa v89, v70, v80 dst_sel:DWORD dst_unused:UNUSED_PAD src0_sel:WORD_0 src1_sel:DWORD
	;; [unrolled: 1-line block ×3, first 2 shown]
	v_lshrrev_b16 v83, 13, v77
	v_lshlrev_b64 v[76:77], 3, v[75:76]
	v_lshrrev_b16 v81, 13, v65
	v_mul_u32_u24_sdwa v65, v67, v80 dst_sel:DWORD dst_unused:UNUSED_PAD src0_sel:WORD_0 src1_sel:DWORD
	v_lshrrev_b32_e32 v85, 21, v74
	v_lshrrev_b32_e32 v89, 21, v89
	v_mul_lo_u16 v86, v83, 34
	v_add_co_u32 v76, s1, s2, v76
	v_add_co_ci_u32_e64 v77, s1, s3, v77, s1
	v_lshrrev_b32_e32 v88, 21, v65
	v_mul_lo_u16 v84, v81, 34
	v_mul_lo_u16 v91, v85, 34
	global_load_dwordx2 v[157:158], v[76:77], off offset:256
	v_mul_u32_u24_sdwa v76, v69, v80 dst_sel:DWORD dst_unused:UNUSED_PAD src0_sel:WORD_0 src1_sel:DWORD
	v_mul_lo_u16 v92, v88, 34
	v_lshrrev_b32_e32 v90, 21, v90
	v_mov_b32_e32 v82, 3
	v_sub_nc_u16 v84, v68, v84
	v_lshrrev_b32_e32 v76, 21, v76
	v_mul_lo_u16 v94, v89, 34
	v_sub_nc_u16 v86, v72, v86
	v_sub_nc_u16 v91, v66, v91
	;; [unrolled: 1-line block ×3, first 2 shown]
	v_mul_lo_u16 v76, v76, 34
	v_mul_lo_u16 v95, v90, 34
	v_lshlrev_b32_sdwa v87, v82, v84 dst_sel:DWORD dst_unused:UNUSED_PAD src0_sel:DWORD src1_sel:BYTE_0
	v_sub_nc_u16 v70, v70, v94
	v_lshlrev_b32_sdwa v93, v82, v86 dst_sel:DWORD dst_unused:UNUSED_PAD src0_sel:DWORD src1_sel:BYTE_0
	v_sub_nc_u16 v69, v69, v76
	v_lshlrev_b32_sdwa v77, v82, v91 dst_sel:DWORD dst_unused:UNUSED_PAD src0_sel:DWORD src1_sel:WORD_0
	v_lshlrev_b32_sdwa v80, v82, v92 dst_sel:DWORD dst_unused:UNUSED_PAD src0_sel:DWORD src1_sel:WORD_0
	v_sub_nc_u16 v71, v71, v95
	s_clause 0x2
	global_load_dwordx2 v[159:160], v87, s[2:3] offset:256
	global_load_dwordx2 v[155:156], v93, s[2:3] offset:256
	global_load_dwordx2 v[153:154], v77, s[2:3] offset:256
	v_and_b32_e32 v179, 0xffff, v69
	v_lshlrev_b32_sdwa v77, v82, v70 dst_sel:DWORD dst_unused:UNUSED_PAD src0_sel:DWORD src1_sel:WORD_0
	s_clause 0x1
	global_load_dwordx2 v[151:152], v80, s[2:3] offset:256
	global_load_dwordx2 v[149:150], v77, s[2:3] offset:256
	v_lshlrev_b32_sdwa v82, v82, v71 dst_sel:DWORD dst_unused:UNUSED_PAD src0_sel:DWORD src1_sel:WORD_0
	v_lshlrev_b32_e32 v69, 3, v179
	v_cmp_lt_u16_e64 s1, 33, v168
	v_mov_b32_e32 v76, 0x44
	v_mad_u16 v70, 0x44, v89, v70
	s_clause 0x1
	global_load_dwordx2 v[147:148], v82, s[2:3] offset:256
	global_load_dwordx2 v[145:146], v69, s[2:3] offset:256
	v_cndmask_b32_e64 v69, 0, 0x44, s1
	v_mad_u16 v71, 0x44, v90, v71
	v_mad_u16 v77, 0x44, v88, v92
	v_and_b32_e32 v70, 0xffff, v70
	s_waitcnt vmcnt(0) lgkmcnt(0)
	v_add_nc_u32_e32 v69, v75, v69
	v_mul_u32_u24_sdwa v75, v81, v76 dst_sel:DWORD dst_unused:UNUSED_PAD src0_sel:WORD_0 src1_sel:DWORD
	v_mul_u32_u24_sdwa v76, v83, v76 dst_sel:DWORD dst_unused:UNUSED_PAD src0_sel:WORD_0 src1_sel:DWORD
	v_and_b32_e32 v71, 0xffff, v71
	v_lshl_add_u32 v182, v70, 3, v169
	v_lshl_add_u32 v180, v69, 3, v169
	v_add_nc_u32_sdwa v69, v75, v84 dst_sel:DWORD dst_unused:UNUSED_PAD src0_sel:DWORD src1_sel:BYTE_0
	v_add_nc_u32_sdwa v75, v76, v86 dst_sel:DWORD dst_unused:UNUSED_PAD src0_sel:DWORD src1_sel:BYTE_0
	v_mad_u16 v76, 0x44, v85, v91
	v_lshl_add_u32 v181, v71, 3, v169
	s_barrier
	v_lshl_add_u32 v186, v69, 3, v169
	v_lshl_add_u32 v183, v75, 3, v169
	v_and_b32_e32 v69, 0xffff, v76
	v_and_b32_e32 v75, 0xffff, v77
	buffer_gl0_inv
	v_lshl_add_u32 v185, v69, 3, v169
	v_lshl_add_u32 v184, v75, 3, v169
	v_mul_f32_e32 v69, v35, v158
	v_mul_f32_e32 v76, v34, v158
	v_fma_f32 v34, v34, v157, -v69
	v_fmac_f32_e32 v76, v35, v157
	v_sub_f32_e32 v34, v36, v34
	v_sub_f32_e32 v35, v37, v76
	v_fma_f32 v36, v36, 2.0, -v34
	v_fma_f32 v37, v37, 2.0, -v35
	v_mul_f32_e32 v69, v57, v160
	v_mul_f32_e32 v70, v56, v160
	;; [unrolled: 1-line block ×6, first 2 shown]
	v_fma_f32 v56, v56, v159, -v69
	v_mul_f32_e32 v81, v55, v152
	v_mul_f32_e32 v83, v49, v150
	;; [unrolled: 1-line block ×4, first 2 shown]
	v_fmac_f32_e32 v70, v57, v159
	v_fma_f32 v57, v58, v155, -v71
	v_fma_f32 v58, v48, v149, -v83
	v_mul_f32_e32 v85, v51, v148
	v_mul_f32_e32 v86, v50, v148
	;; [unrolled: 1-line block ×4, first 2 shown]
	v_fmac_f32_e32 v75, v59, v155
	v_fma_f32 v52, v52, v153, -v77
	v_fmac_f32_e32 v80, v53, v153
	v_fma_f32 v54, v54, v151, -v81
	v_fmac_f32_e32 v82, v55, v151
	v_fmac_f32_e32 v84, v49, v149
	v_fma_f32 v59, v50, v147, -v85
	v_fmac_f32_e32 v86, v51, v147
	v_fma_f32 v62, v62, v145, -v48
	v_fmac_f32_e32 v69, v63, v145
	v_sub_f32_e32 v48, v38, v56
	v_sub_f32_e32 v49, v39, v70
	;; [unrolled: 1-line block ×12, first 2 shown]
	ds_write2_b64 v180, v[36:37], v[34:35] offset1:34
	v_fma_f32 v34, v38, 2.0, -v48
	v_fma_f32 v35, v39, 2.0, -v49
	v_sub_f32_e32 v163, v60, v62
	v_sub_f32_e32 v164, v61, v69
	v_fma_f32 v36, v44, 2.0, -v50
	v_fma_f32 v37, v45, 2.0, -v51
	;; [unrolled: 1-line block ×10, first 2 shown]
	ds_write2_b64 v186, v[34:35], v[48:49] offset1:34
	ds_write2_b64 v183, v[36:37], v[50:51] offset1:34
	;; [unrolled: 1-line block ×6, first 2 shown]
	s_and_saveexec_b32 s1, vcc_lo
	s_cbranch_execz .LBB0_15
; %bb.14:
	v_lshl_add_u32 v34, v179, 3, v169
	v_fma_f32 v33, v61, 2.0, -v164
	v_fma_f32 v32, v60, 2.0, -v163
	v_add_nc_u32_e32 v34, 0x1800, v34
	ds_write2_b64 v34, v[32:33], v[163:164] offset0:184 offset1:218
.LBB0_15:
	s_or_b32 exec_lo, exec_lo, s1
	v_mul_lo_u16 v36, 0x79, v73
	v_lshrrev_b32_e32 v37, 22, v74
	v_lshrrev_b32_e32 v38, 22, v65
	v_lshlrev_b32_e32 v32, 3, v64
	s_waitcnt lgkmcnt(0)
	v_lshrrev_b16 v36, 13, v36
	v_mul_lo_u16 v37, 0x44, v37
	v_mul_lo_u16 v38, 0x44, v38
	s_barrier
	buffer_gl0_inv
	v_mul_lo_u16 v36, 0x44, v36
	global_load_dwordx4 v[32:35], v32, s[2:3] offset:528
	v_sub_nc_u16 v69, v66, v37
	v_sub_nc_u16 v70, v67, v38
	v_add_nc_u32_e32 v84, 0x800, v167
	v_sub_nc_u16 v36, v72, v36
	v_add_nc_u32_e32 v80, 0x1000, v167
	v_lshlrev_b16 v37, 4, v69
	v_lshlrev_b16 v38, 4, v70
	v_and_b32_e32 v73, 0xffff, v69
	v_and_b32_e32 v71, 0xff, v36
	;; [unrolled: 1-line block ×5, first 2 shown]
	v_add_nc_u32_e32 v85, 0x1800, v167
	v_lshlrev_b32_e32 v39, 4, v71
	v_lshl_add_u32 v189, v73, 3, v169
	v_add_co_u32 v36, s1, s2, v36
	v_add_co_ci_u32_e64 v37, null, s3, 0, s1
	global_load_dwordx4 v[44:47], v39, s[2:3] offset:528
	v_add_co_u32 v38, s1, s2, v38
	v_add_co_ci_u32_e64 v39, null, s3, 0, s1
	s_clause 0x1
	global_load_dwordx4 v[40:43], v[36:37], off offset:528
	global_load_dwordx4 v[36:39], v[38:39], off offset:528
	ds_read2_b64 v[48:51], v167 offset1:68
	ds_read2_b64 v[52:55], v84 offset0:16 offset1:84
	ds_read2_b64 v[56:59], v167 offset0:136 offset1:204
	;; [unrolled: 1-line block ×4, first 2 shown]
	ds_read_b64 v[69:70], v167 offset:7616
	v_lshl_add_u32 v188, v74, 3, v169
	ds_read2_b64 v[73:76], v85 offset0:48 offset1:116
	ds_read2_b64 v[86:89], v80 offset0:32 offset1:100
	s_waitcnt vmcnt(0) lgkmcnt(0)
	s_barrier
	buffer_gl0_inv
	v_lshl_add_u32 v190, v71, 3, v169
	v_add_nc_u32_e32 v71, 0x1000, v189
	v_lshlrev_b32_e32 v77, 5, v168
	v_add_nc_u32_e32 v81, 0x1800, v188
	v_lshl_add_u32 v187, v168, 3, v169
	v_add_nc_u32_e32 v82, 0x800, v190
	v_add_nc_u32_e32 v170, 0xc00, v167
	;; [unrolled: 1-line block ×3, first 2 shown]
	v_mul_f32_e32 v83, v55, v33
	v_mul_f32_e32 v90, v54, v33
	;; [unrolled: 1-line block ×8, first 2 shown]
	v_fma_f32 v54, v54, v32, -v83
	v_fmac_f32_e32 v90, v55, v32
	v_fma_f32 v55, v60, v34, -v91
	v_fmac_f32_e32 v92, v61, v34
	;; [unrolled: 2-line block ×4, first 2 shown]
	v_add_f32_e32 v63, v54, v55
	v_add_f32_e32 v83, v90, v92
	;; [unrolled: 1-line block ×4, first 2 shown]
	v_sub_f32_e32 v95, v94, v96
	v_add_f32_e32 v94, v94, v96
	v_add_f32_e32 v62, v48, v54
	v_sub_f32_e32 v64, v90, v92
	v_add_f32_e32 v65, v49, v90
	v_sub_f32_e32 v90, v54, v55
	v_add_f32_e32 v91, v50, v60
	v_fma_f32 v48, -0.5, v63, v48
	v_fma_f32 v49, -0.5, v83, v49
	v_sub_f32_e32 v98, v60, v61
	v_fma_f32 v50, -0.5, v93, v50
	v_fmac_f32_e32 v51, -0.5, v94
	v_add_f32_e32 v54, v62, v55
	v_add_f32_e32 v55, v65, v92
	;; [unrolled: 1-line block ×3, first 2 shown]
	v_fmamk_f32 v62, v64, 0x3f5db3d7, v48
	v_fmamk_f32 v63, v90, 0xbf5db3d7, v49
	v_fmac_f32_e32 v49, 0x3f5db3d7, v90
	v_mul_f32_e32 v83, v67, v45
	v_mul_f32_e32 v90, v66, v45
	;; [unrolled: 1-line block ×4, first 2 shown]
	v_add_f32_e32 v61, v97, v96
	v_fmac_f32_e32 v48, 0xbf5db3d7, v64
	v_fmamk_f32 v64, v95, 0x3f5db3d7, v50
	v_fmac_f32_e32 v50, 0xbf5db3d7, v95
	v_fmamk_f32 v65, v98, 0xbf5db3d7, v51
	v_fmac_f32_e32 v51, 0x3f5db3d7, v98
	v_mul_f32_e32 v93, v87, v41
	v_mul_f32_e32 v94, v86, v41
	v_mul_f32_e32 v95, v76, v43
	v_mul_f32_e32 v96, v75, v43
	v_mul_f32_e32 v97, v89, v37
	v_mul_f32_e32 v98, v88, v37
	v_mul_f32_e32 v99, v70, v39
	v_mul_f32_e32 v100, v69, v39
	ds_write2_b64 v167, v[54:55], v[62:63] offset1:68
	ds_write2_b64 v167, v[48:49], v[60:61] offset0:136 offset1:204
	ds_write2_b64 v84, v[64:65], v[50:51] offset0:16 offset1:84
	v_fma_f32 v48, v66, v44, -v83
	v_fmac_f32_e32 v90, v67, v44
	v_fma_f32 v49, v73, v46, -v91
	v_fmac_f32_e32 v92, v74, v46
	;; [unrolled: 2-line block ×6, first 2 shown]
	v_add_f32_e32 v61, v48, v49
	v_add_f32_e32 v64, v90, v92
	;; [unrolled: 1-line block ×7, first 2 shown]
	v_sub_f32_e32 v62, v90, v92
	v_add_f32_e32 v63, v57, v90
	v_sub_f32_e32 v65, v48, v49
	v_add_f32_e32 v66, v58, v50
	;; [unrolled: 2-line block ×3, first 2 shown]
	v_sub_f32_e32 v88, v51, v60
	v_fma_f32 v50, -0.5, v61, v56
	v_fma_f32 v51, -0.5, v64, v57
	v_sub_f32_e32 v69, v94, v96
	v_add_f32_e32 v70, v59, v94
	v_fma_f32 v58, -0.5, v67, v58
	v_fmac_f32_e32 v59, -0.5, v73
	v_sub_f32_e32 v83, v98, v100
	v_add_f32_e32 v86, v53, v98
	v_fma_f32 v52, -0.5, v76, v52
	v_fmac_f32_e32 v53, -0.5, v87
	v_add_f32_e32 v48, v55, v49
	v_add_f32_e32 v49, v63, v92
	;; [unrolled: 1-line block ×3, first 2 shown]
	v_fmamk_f32 v60, v62, 0x3f5db3d7, v50
	v_fmamk_f32 v61, v65, 0xbf5db3d7, v51
	v_fmac_f32_e32 v50, 0xbf5db3d7, v62
	v_fmac_f32_e32 v51, 0x3f5db3d7, v65
	v_add_f32_e32 v54, v66, v54
	v_add_f32_e32 v55, v70, v96
	v_fmamk_f32 v62, v69, 0x3f5db3d7, v58
	v_fmamk_f32 v63, v74, 0xbf5db3d7, v59
	v_fmac_f32_e32 v58, 0xbf5db3d7, v69
	v_fmac_f32_e32 v59, 0x3f5db3d7, v74
	v_add_f32_e32 v57, v86, v100
	v_fmamk_f32 v64, v83, 0x3f5db3d7, v52
	v_fmamk_f32 v65, v88, 0xbf5db3d7, v53
	v_fmac_f32_e32 v52, 0xbf5db3d7, v83
	v_fmac_f32_e32 v53, 0x3f5db3d7, v88
	ds_write2_b64 v82, v[48:49], v[60:61] offset0:152 offset1:220
	ds_write_b64 v190, v[50:51] offset:4352
	ds_write2_b64 v71, v[54:55], v[62:63] offset0:100 offset1:168
	ds_write_b64 v189, v[58:59] offset:5984
	;; [unrolled: 2-line block ×3, first 2 shown]
	v_lshlrev_b32_e32 v48, 5, v68
	s_waitcnt lgkmcnt(0)
	s_barrier
	buffer_gl0_inv
	global_load_dwordx4 v[64:67], v77, s[2:3] offset:1616
	v_lshlrev_b32_e32 v49, 5, v72
	s_clause 0x4
	global_load_dwordx4 v[68:71], v77, s[2:3] offset:1632
	global_load_dwordx4 v[52:55], v48, s[2:3] offset:1616
	;; [unrolled: 1-line block ×5, first 2 shown]
	ds_read2_b64 v[72:75], v167 offset0:136 offset1:204
	ds_read2_b64 v[86:89], v84 offset0:152 offset1:220
	ds_read2_b64 v[90:93], v80 offset0:32 offset1:100
	ds_read2_b64 v[94:97], v85 offset0:48 offset1:116
	ds_read2_b64 v[98:101], v84 offset0:16 offset1:84
	ds_read2_b64 v[102:105], v80 offset0:168 offset1:236
	ds_read2_b64 v[106:109], v167 offset1:68
	ds_read_b64 v[110:111], v167 offset:7616
	v_add_nc_u32_e32 v83, 0x600, v167
	v_add_co_u32 v76, s1, 0x1fe0, v78
	v_add_co_ci_u32_e64 v77, s1, 0, v79, s1
	v_add_co_u32 v81, s1, 0x2800, v78
	v_add_co_ci_u32_e64 v82, s1, 0, v79, s1
	s_waitcnt vmcnt(5) lgkmcnt(7)
	v_mul_f32_e32 v165, v75, v65
	v_mul_f32_e32 v166, v74, v65
	s_waitcnt lgkmcnt(6)
	v_mul_f32_e32 v172, v87, v67
	v_mul_f32_e32 v173, v86, v67
	s_waitcnt vmcnt(4) lgkmcnt(5)
	v_mul_f32_e32 v174, v93, v69
	v_mul_f32_e32 v175, v92, v69
	s_waitcnt lgkmcnt(4)
	v_mul_f32_e32 v176, v95, v71
	v_mul_f32_e32 v191, v94, v71
	s_waitcnt vmcnt(3) lgkmcnt(3)
	v_mul_f32_e32 v192, v99, v53
	v_mul_f32_e32 v193, v98, v53
	;; [unrolled: 1-line block ×4, first 2 shown]
	s_waitcnt vmcnt(2) lgkmcnt(2)
	v_mul_f32_e32 v196, v103, v61
	v_mul_f32_e32 v197, v102, v61
	s_waitcnt vmcnt(1)
	v_mul_f32_e32 v200, v101, v57
	v_mul_f32_e32 v201, v100, v57
	;; [unrolled: 1-line block ×4, first 2 shown]
	s_waitcnt vmcnt(0)
	v_mul_f32_e32 v204, v105, v49
	v_mul_f32_e32 v205, v104, v49
	s_waitcnt lgkmcnt(0)
	v_mul_f32_e32 v206, v111, v51
	v_mul_f32_e32 v207, v110, v51
	;; [unrolled: 1-line block ×4, first 2 shown]
	v_fma_f32 v74, v74, v64, -v165
	v_fmac_f32_e32 v166, v75, v64
	v_fma_f32 v75, v86, v66, -v172
	v_fmac_f32_e32 v173, v87, v66
	;; [unrolled: 2-line block ×12, first 2 shown]
	v_add_f32_e32 v89, v106, v74
	v_add_f32_e32 v91, v75, v92
	;; [unrolled: 1-line block ×6, first 2 shown]
	v_sub_f32_e32 v103, v166, v191
	v_sub_f32_e32 v93, v74, v75
	;; [unrolled: 1-line block ×9, first 2 shown]
	v_add_f32_e32 v194, v108, v86
	v_add_f32_e32 v196, v88, v94
	v_add_f32_e32 v210, v109, v193
	v_add_f32_e32 v211, v195, v197
	v_add_f32_e32 v218, v72, v87
	v_add_f32_e32 v219, v90, v98
	v_add_f32_e32 v224, v87, v110
	v_add_f32_e32 v227, v73, v201
	v_add_f32_e32 v228, v203, v205
	v_add_f32_e32 v233, v201, v207
	v_sub_f32_e32 v104, v173, v175
	v_sub_f32_e32 v105, v74, v172
	;; [unrolled: 1-line block ×4, first 2 shown]
	v_add_f32_e32 v206, v86, v174
	v_sub_f32_e32 v208, v88, v86
	v_sub_f32_e32 v212, v86, v174
	v_add_f32_e32 v216, v193, v199
	v_sub_f32_e32 v222, v87, v90
	v_sub_f32_e32 v225, v90, v87
	;; [unrolled: 1-line block ×3, first 2 shown]
	v_add_f32_e32 v235, v89, v75
	v_fma_f32 v74, -0.5, v91, v106
	v_fma_f32 v86, -0.5, v96, v106
	v_add_f32_e32 v91, v100, v173
	v_fma_f32 v75, -0.5, v101, v107
	v_fma_f32 v87, -0.5, v176, v107
	v_sub_f32_e32 v198, v193, v199
	v_sub_f32_e32 v204, v174, v94
	;; [unrolled: 1-line block ×6, first 2 shown]
	v_add_f32_e32 v236, v93, v95
	v_add_f32_e32 v237, v97, v99
	;; [unrolled: 1-line block ×5, first 2 shown]
	v_fma_f32 v88, -0.5, v196, v108
	v_add_f32_e32 v97, v210, v195
	v_fma_f32 v89, -0.5, v211, v109
	v_add_f32_e32 v99, v218, v90
	v_fma_f32 v165, -0.5, v219, v72
	v_fma_f32 v72, -0.5, v224, v72
	v_add_f32_e32 v101, v227, v203
	v_fma_f32 v166, -0.5, v228, v73
	v_fmac_f32_e32 v73, -0.5, v233
	v_sub_f32_e32 v200, v195, v197
	v_fma_f32 v108, -0.5, v206, v108
	v_fmac_f32_e32 v109, -0.5, v216
	v_add_f32_e32 v102, v235, v92
	v_fmamk_f32 v90, v103, 0x3f737871, v74
	v_fmamk_f32 v92, v104, 0xbf737871, v86
	v_add_f32_e32 v106, v91, v175
	v_fmamk_f32 v91, v105, 0xbf737871, v75
	v_fmamk_f32 v93, v111, 0x3f737871, v87
	v_fmac_f32_e32 v74, 0xbf737871, v103
	v_fmac_f32_e32 v86, 0x3f737871, v104
	;; [unrolled: 1-line block ×4, first 2 shown]
	v_sub_f32_e32 v209, v94, v174
	v_sub_f32_e32 v214, v193, v195
	;; [unrolled: 1-line block ×10, first 2 shown]
	v_add_f32_e32 v192, v202, v204
	v_add_f32_e32 v107, v95, v94
	v_fmamk_f32 v94, v198, 0x3f737871, v88
	v_add_f32_e32 v175, v97, v197
	v_fmamk_f32 v95, v212, 0xbf737871, v89
	;; [unrolled: 2-line block ×3, first 2 shown]
	v_fmamk_f32 v100, v221, 0xbf737871, v72
	v_fmac_f32_e32 v72, 0x3f737871, v221
	v_add_f32_e32 v204, v101, v205
	v_fmamk_f32 v99, v229, 0xbf737871, v166
	v_fmamk_f32 v101, v230, 0x3f737871, v73
	v_fmac_f32_e32 v73, 0xbf737871, v230
	v_sub_f32_e32 v193, v195, v193
	v_fmac_f32_e32 v88, 0xbf737871, v198
	v_fmamk_f32 v96, v200, 0xbf737871, v108
	v_fmac_f32_e32 v108, 0x3f737871, v200
	v_fmac_f32_e32 v89, 0x3f737871, v212
	v_fmamk_f32 v97, v213, 0x3f737871, v109
	v_fmac_f32_e32 v109, 0xbf737871, v213
	v_fmac_f32_e32 v165, 0xbf737871, v220
	v_fmac_f32_e32 v166, 0x3f737871, v229
	v_fmac_f32_e32 v90, 0x3f167918, v104
	v_fmac_f32_e32 v92, 0x3f167918, v103
	v_fmac_f32_e32 v91, 0xbf167918, v111
	v_fmac_f32_e32 v93, 0xbf167918, v105
	v_fmac_f32_e32 v74, 0xbf167918, v104
	v_fmac_f32_e32 v86, 0xbf167918, v103
	v_fmac_f32_e32 v75, 0x3f167918, v111
	v_fmac_f32_e32 v87, 0x3f167918, v105
	v_add_f32_e32 v195, v214, v215
	v_add_f32_e32 v196, v222, v223
	;; [unrolled: 1-line block ×5, first 2 shown]
	v_fmac_f32_e32 v94, 0x3f167918, v200
	v_fmac_f32_e32 v95, 0xbf167918, v213
	;; [unrolled: 1-line block ×6, first 2 shown]
	v_add_f32_e32 v194, v208, v209
	v_add_f32_e32 v193, v193, v217
	v_fmac_f32_e32 v88, 0xbf167918, v200
	v_fmac_f32_e32 v96, 0x3f167918, v198
	;; [unrolled: 1-line block ×18, first 2 shown]
	v_add_f32_e32 v102, v102, v172
	v_add_f32_e32 v103, v106, v191
	;; [unrolled: 1-line block ×6, first 2 shown]
	v_fmac_f32_e32 v94, 0x3e9e377a, v192
	v_fmac_f32_e32 v95, 0x3e9e377a, v195
	;; [unrolled: 1-line block ×16, first 2 shown]
	ds_write2_b64 v83, v[90:91], v[92:93] offset0:12 offset1:216
	ds_write2_b64 v171, v[86:87], v[74:75] offset0:36 offset1:240
	ds_write2_b64 v167, v[102:103], v[104:105] offset1:68
	ds_write_b64 v167, v[106:107] offset:1088
	ds_write2_b64 v84, v[94:95], v[98:99] offset0:16 offset1:84
	ds_write2_b64 v170, v[96:97], v[100:101] offset0:92 offset1:160
	;; [unrolled: 1-line block ×4, first 2 shown]
	s_waitcnt lgkmcnt(0)
	s_barrier
	buffer_gl0_inv
	s_clause 0x1
	buffer_load_dword v72, off, s[16:19], 0
	buffer_load_dword v73, off, s[16:19], 0 offset:4
	v_add_co_u32 v86, s1, 0x3000, v78
	v_add_co_ci_u32_e64 v87, s1, 0, v79, s1
	v_add_co_u32 v78, s1, 0x3800, v78
	v_add_co_ci_u32_e64 v79, s1, 0, v79, s1
	s_waitcnt vmcnt(0)
	s_clause 0xd
	global_load_dwordx2 v[73:74], v[72:73], off offset:2016
	global_load_dwordx2 v[110:111], v[81:82], off offset:2000
	;; [unrolled: 1-line block ×14, first 2 shown]
	v_add_nc_u32_e32 v72, 0x1400, v167
	ds_read2_b64 v[86:89], v167 offset1:68
	ds_read2_b64 v[90:93], v84 offset0:152 offset1:254
	ds_read2_b64 v[94:97], v80 offset0:66 offset1:134
	ds_read2_b64 v[98:101], v167 offset0:136 offset1:204
	ds_read2_b64 v[102:105], v72 offset0:74 offset1:142
	ds_read2_b64 v[106:109], v84 offset0:16 offset1:84
	ds_read2_b64 v[191:194], v85 offset0:82 offset1:150
	s_waitcnt vmcnt(6) lgkmcnt(2)
	v_mul_f32_e32 v215, v103, v206
	v_mul_f32_e32 v171, v93, v111
	;; [unrolled: 1-line block ×16, first 2 shown]
	s_waitcnt vmcnt(5) lgkmcnt(1)
	v_mul_f32_e32 v217, v107, v208
	v_mul_f32_e32 v206, v106, v208
	s_waitcnt vmcnt(4)
	v_mul_f32_e32 v218, v105, v210
	v_mul_f32_e32 v208, v104, v210
	s_waitcnt vmcnt(3)
	v_mul_f32_e32 v219, v109, v212
	v_mul_f32_e32 v210, v108, v212
	s_waitcnt vmcnt(2) lgkmcnt(0)
	v_mul_f32_e32 v220, v192, v214
	v_mul_f32_e32 v212, v191, v214
	s_waitcnt vmcnt(1)
	v_mul_f32_e32 v221, v91, v82
	v_mul_f32_e32 v214, v90, v82
	s_waitcnt vmcnt(0)
	v_mul_f32_e32 v222, v194, v79
	v_mul_f32_e32 v216, v193, v79
	v_fma_f32 v74, v86, v73, -v170
	v_fmac_f32_e32 v75, v87, v73
	v_fma_f32 v82, v92, v110, -v171
	v_fmac_f32_e32 v83, v93, v110
	v_fma_f32 v110, v88, v195, -v172
	v_fmac_f32_e32 v111, v89, v195
	v_fma_f32 v195, v94, v197, -v173
	v_fmac_f32_e32 v196, v95, v197
	v_fma_f32 v197, v98, v201, -v174
	v_fmac_f32_e32 v198, v99, v201
	v_fma_f32 v201, v96, v199, -v175
	v_fmac_f32_e32 v202, v97, v199
	v_fma_f32 v199, v100, v203, -v176
	v_fmac_f32_e32 v200, v101, v203
	v_fma_f32 v203, v102, v205, -v215
	v_fmac_f32_e32 v204, v103, v205
	v_fma_f32 v205, v106, v207, -v217
	v_fmac_f32_e32 v206, v107, v207
	v_fma_f32 v207, v104, v209, -v218
	v_fmac_f32_e32 v208, v105, v209
	v_fma_f32 v209, v108, v211, -v219
	v_fmac_f32_e32 v210, v109, v211
	v_fma_f32 v211, v191, v213, -v220
	v_fmac_f32_e32 v212, v192, v213
	v_fma_f32 v213, v90, v81, -v221
	v_fmac_f32_e32 v214, v91, v81
	v_fma_f32 v215, v193, v78, -v222
	v_fmac_f32_e32 v216, v194, v78
	ds_write2_b64 v167, v[74:75], v[110:111] offset1:68
	ds_write2_b64 v80, v[195:196], v[201:202] offset0:66 offset1:134
	ds_write2_b64 v167, v[197:198], v[199:200] offset0:136 offset1:204
	;; [unrolled: 1-line block ×6, first 2 shown]
	s_and_saveexec_b32 s2, vcc_lo
	s_cbranch_execz .LBB0_17
; %bb.16:
	v_add_co_u32 v73, s1, 0x800, v76
	v_add_co_ci_u32_e64 v74, s1, 0, v77, s1
	v_add_co_u32 v75, s1, 0x1800, v76
	v_add_co_ci_u32_e64 v76, s1, 0, v77, s1
	s_clause 0x1
	global_load_dwordx2 v[73:74], v[73:74], off offset:1760
	global_load_dwordx2 v[75:76], v[75:76], off offset:1744
	ds_read_b64 v[77:78], v167 offset:3808
	ds_read_b64 v[81:82], v167 offset:7888
	s_waitcnt vmcnt(1) lgkmcnt(1)
	v_mul_f32_e32 v79, v78, v74
	v_mul_f32_e32 v87, v77, v74
	s_waitcnt vmcnt(0) lgkmcnt(0)
	v_mul_f32_e32 v83, v82, v76
	v_mul_f32_e32 v74, v81, v76
	v_fma_f32 v86, v77, v73, -v79
	v_fmac_f32_e32 v87, v78, v73
	v_fma_f32 v73, v81, v75, -v83
	v_fmac_f32_e32 v74, v82, v75
	ds_write_b64 v167, v[86:87] offset:3808
	ds_write_b64 v167, v[73:74] offset:7888
.LBB0_17:
	s_or_b32 exec_lo, exec_lo, s2
	s_waitcnt lgkmcnt(0)
	s_barrier
	buffer_gl0_inv
	ds_read2_b64 v[91:94], v167 offset1:68
	ds_read2_b64 v[76:79], v84 offset0:152 offset1:254
	ds_read2_b64 v[86:89], v80 offset0:66 offset1:134
	;; [unrolled: 1-line block ×6, first 2 shown]
	s_and_saveexec_b32 s1, vcc_lo
	s_cbranch_execz .LBB0_19
; %bb.18:
	ds_read_b64 v[165:166], v167 offset:3808
	ds_read_b64 v[163:164], v167 offset:7888
.LBB0_19:
	s_or_b32 exec_lo, exec_lo, s1
	s_waitcnt lgkmcnt(5)
	v_sub_f32_e32 v74, v91, v78
	s_waitcnt lgkmcnt(4)
	v_sub_f32_e32 v87, v94, v87
	;; [unrolled: 2-line block ×3, first 2 shown]
	v_sub_f32_e32 v103, v83, v97
	v_sub_f32_e32 v75, v92, v79
	;; [unrolled: 1-line block ×4, first 2 shown]
	v_fma_f32 v72, v91, 2.0, -v74
	v_sub_f32_e32 v91, v81, v89
	v_fma_f32 v85, v94, 2.0, -v87
	s_waitcnt lgkmcnt(1)
	v_sub_f32_e32 v98, v104, v98
	v_sub_f32_e32 v99, v105, v99
	v_fma_f32 v100, v82, 2.0, -v102
	s_waitcnt lgkmcnt(0)
	v_sub_f32_e32 v94, v106, v108
	v_fma_f32 v101, v83, 2.0, -v103
	v_sub_f32_e32 v95, v107, v109
	v_sub_f32_e32 v82, v76, v110
	;; [unrolled: 1-line block ×5, first 2 shown]
	v_fma_f32 v73, v92, 2.0, -v75
	v_fma_f32 v84, v93, 2.0, -v86
	;; [unrolled: 1-line block ×12, first 2 shown]
	s_barrier
	buffer_gl0_inv
	ds_write_b128 v248, v[72:75]
	ds_write_b128 v254, v[84:87]
	;; [unrolled: 1-line block ×7, first 2 shown]
	s_and_saveexec_b32 s1, vcc_lo
	s_cbranch_execz .LBB0_21
; %bb.20:
	ds_write_b128 v249, v[76:79]
.LBB0_21:
	s_or_b32 exec_lo, exec_lo, s1
	s_waitcnt lgkmcnt(0)
	s_barrier
	buffer_gl0_inv
	s_and_saveexec_b32 s1, s0
	s_cbranch_execz .LBB0_23
; %bb.22:
	v_add_nc_u32_e32 v76, 0x400, v167
	v_add_nc_u32_e32 v77, 0x800, v167
	;; [unrolled: 1-line block ×3, first 2 shown]
	ds_read2_b64 v[72:75], v167 offset1:60
	ds_read2_b64 v[84:87], v167 offset0:120 offset1:180
	v_add_nc_u32_e32 v79, 0x1400, v167
	ds_read2_b64 v[88:91], v76 offset0:112 offset1:172
	v_add_nc_u32_e32 v76, 0x1000, v167
	v_add_nc_u32_e32 v104, 0x1800, v167
	ds_read2_b64 v[100:103], v77 offset0:104 offset1:164
	ds_read2_b64 v[96:99], v78 offset0:96 offset1:156
	;; [unrolled: 1-line block ×5, first 2 shown]
	ds_read_b64 v[161:162], v167 offset:7680
.LBB0_23:
	s_or_b32 exec_lo, exec_lo, s1
	s_waitcnt lgkmcnt(8)
	v_mul_f32_e32 v197, v29, v75
	v_mul_f32_e32 v29, v29, v74
	s_waitcnt lgkmcnt(7)
	v_mul_f32_e32 v104, v31, v85
	v_mul_f32_e32 v31, v31, v84
	s_waitcnt lgkmcnt(0)
	v_fmac_f32_e32 v197, v28, v74
	v_fma_f32 v200, v28, v75, -v29
	v_mul_f32_e32 v74, v21, v87
	v_mul_f32_e32 v28, v21, v86
	;; [unrolled: 1-line block ×5, first 2 shown]
	v_fmac_f32_e32 v74, v20, v86
	v_fma_f32 v20, v20, v87, -v28
	v_mul_f32_e32 v28, v17, v90
	v_fma_f32 v177, v22, v89, -v29
	v_fmac_f32_e32 v23, v16, v90
	v_mul_f32_e32 v17, v19, v101
	v_mul_f32_e32 v29, v19, v100
	v_fma_f32 v19, v16, v91, -v28
	v_mul_f32_e32 v16, v9, v103
	v_mul_f32_e32 v28, v9, v102
	v_fmac_f32_e32 v17, v18, v100
	v_fma_f32 v18, v18, v101, -v29
	v_mul_f32_e32 v9, v11, v97
	v_fmac_f32_e32 v16, v8, v102
	v_fma_f32 v8, v8, v103, -v28
	v_mul_f32_e32 v28, v11, v96
	v_mul_f32_e32 v11, v25, v99
	v_mul_f32_e32 v29, v25, v98
	v_mul_f32_e32 v25, v27, v93
	v_fmac_f32_e32 v104, v30, v84
	v_fma_f32 v178, v10, v97, -v28
	v_mul_f32_e32 v28, v27, v92
	v_fmac_f32_e32 v11, v24, v98
	v_fma_f32 v27, v24, v99, -v29
	v_fmac_f32_e32 v25, v26, v92
	v_mul_f32_e32 v24, v13, v95
	v_mul_f32_e32 v29, v13, v94
	v_fma_f32 v26, v26, v93, -v28
	v_mul_f32_e32 v13, v15, v81
	v_mul_f32_e32 v15, v15, v80
	;; [unrolled: 1-line block ×4, first 2 shown]
	v_fma_f32 v75, v30, v85, -v31
	v_fmac_f32_e32 v13, v14, v80
	v_fma_f32 v81, v14, v81, -v15
	v_mul_f32_e32 v14, v3, v162
	v_fma_f32 v15, v2, v162, -v28
	v_mul_f32_e32 v80, v5, v83
	v_mul_f32_e32 v3, v5, v82
	v_fmac_f32_e32 v24, v12, v94
	v_fmac_f32_e32 v14, v2, v161
	v_sub_f32_e32 v202, v200, v15
	v_mul_f32_e32 v2, v1, v78
	v_add_f32_e32 v203, v15, v200
	v_fma_f32 v191, v12, v95, -v29
	v_fmac_f32_e32 v80, v4, v82
	v_fma_f32 v82, v4, v83, -v3
	v_fmac_f32_e32 v84, v6, v76
	v_add_f32_e32 v201, v14, v197
	v_mul_f32_e32 v204, 0xbf2c7751, v202
	v_mul_f32_e32 v3, v7, v76
	v_mul_f32_e32 v76, v1, v79
	v_fma_f32 v12, v0, v79, -v2
	v_sub_f32_e32 v1, v197, v14
	v_mul_f32_e32 v205, 0x3f3d2fb0, v203
	v_fmac_f32_e32 v9, v10, v96
	v_fma_f32 v2, 0x3f3d2fb0, v201, -v204
	v_fma_f32 v10, v6, v77, -v3
	v_fmac_f32_e32 v76, v0, v78
	v_sub_f32_e32 v91, v75, v12
	v_fmamk_f32 v3, v1, 0xbf2c7751, v205
	v_add_f32_e32 v92, v12, v75
	v_add_f32_e32 v4, v72, v2
	v_mul_f32_e32 v0, 0xbf65296c, v202
	v_mul_f32_e32 v206, 0x3ee437d1, v203
	v_add_f32_e32 v2, v76, v104
	v_mul_f32_e32 v162, 0xbf7ee86f, v91
	v_add_f32_e32 v5, v73, v3
	v_sub_f32_e32 v3, v104, v76
	v_mul_f32_e32 v163, 0x3dbcf732, v92
	v_fma_f32 v6, 0x3ee437d1, v201, -v0
	v_fmamk_f32 v7, v1, 0xbf65296c, v206
	v_fma_f32 v28, 0x3dbcf732, v2, -v162
	v_sub_f32_e32 v93, v20, v10
	v_fmamk_f32 v29, v3, 0xbf7ee86f, v163
	v_mul_f32_e32 v110, 0xbf4c4adb, v91
	v_mul_f32_e32 v111, 0xbf1a4643, v92
	v_add_f32_e32 v94, v10, v20
	v_fmac_f32_e32 v21, v22, v88
	v_add_f32_e32 v6, v72, v6
	v_add_f32_e32 v7, v73, v7
	;; [unrolled: 1-line block ×4, first 2 shown]
	v_mul_f32_e32 v172, 0xbf4c4adb, v93
	v_add_f32_e32 v29, v29, v5
	v_fma_f32 v30, 0xbf1a4643, v2, -v110
	v_fmamk_f32 v31, v3, 0xbf4c4adb, v111
	v_sub_f32_e32 v5, v74, v84
	v_mul_f32_e32 v173, 0xbf1a4643, v94
	v_sub_f32_e32 v95, v177, v82
	v_fma_f32 v77, 0xbf1a4643, v4, -v172
	v_add_f32_e32 v30, v30, v6
	v_add_f32_e32 v31, v31, v7
	v_fmamk_f32 v7, v5, 0xbf4c4adb, v173
	v_mul_f32_e32 v83, 0x3e3c28d5, v93
	v_mul_f32_e32 v171, 0xbf7ba420, v94
	v_add_f32_e32 v6, v80, v21
	v_mul_f32_e32 v174, 0xbe3c28d5, v95
	v_add_f32_e32 v98, v82, v177
	v_add_f32_e32 v28, v77, v28
	;; [unrolled: 1-line block ×3, first 2 shown]
	v_fma_f32 v77, 0xbf7ba420, v4, -v83
	v_fmamk_f32 v78, v5, 0x3e3c28d5, v171
	v_fma_f32 v85, 0xbf7ba420, v6, -v174
	v_sub_f32_e32 v7, v21, v80
	v_mul_f32_e32 v175, 0xbf7ba420, v98
	v_sub_f32_e32 v99, v19, v81
	v_mul_f32_e32 v193, 0x3f763a35, v95
	v_mul_f32_e32 v164, 0xbe8c1d8e, v98
	v_add_f32_e32 v102, v81, v19
	v_add_f32_e32 v30, v77, v30
	;; [unrolled: 1-line block ×4, first 2 shown]
	v_fmamk_f32 v85, v7, 0xbe3c28d5, v175
	v_add_f32_e32 v77, v13, v23
	v_mul_f32_e32 v22, 0x3f06c442, v99
	v_fma_f32 v86, 0xbe8c1d8e, v6, -v193
	v_fmamk_f32 v87, v7, 0x3f763a35, v164
	v_sub_f32_e32 v78, v23, v13
	v_mul_f32_e32 v176, 0xbf59a7d5, v102
	v_add_f32_e32 v106, v191, v18
	v_fma_f32 v88, 0xbf59a7d5, v77, -v22
	v_add_f32_e32 v29, v85, v29
	v_add_f32_e32 v30, v86, v30
	;; [unrolled: 1-line block ×3, first 2 shown]
	v_fmamk_f32 v87, v78, 0x3f06c442, v176
	v_sub_f32_e32 v105, v18, v191
	v_mul_f32_e32 v194, 0x3f2c7751, v99
	v_mul_f32_e32 v198, 0x3f3d2fb0, v102
	v_sub_f32_e32 v86, v17, v24
	v_mul_f32_e32 v192, 0xbe8c1d8e, v106
	v_add_f32_e32 v28, v88, v28
	v_add_f32_e32 v85, v24, v17
	v_mul_f32_e32 v79, 0x3f763a35, v105
	v_fma_f32 v88, 0x3f3d2fb0, v77, -v194
	v_fmamk_f32 v89, v78, 0x3f2c7751, v198
	v_add_f32_e32 v29, v87, v29
	v_fmamk_f32 v87, v86, 0x3f763a35, v192
	v_mul_f32_e32 v199, 0xbeb8f4ab, v105
	v_sub_f32_e32 v109, v8, v26
	v_fma_f32 v90, 0xbe8c1d8e, v85, -v79
	v_add_f32_e32 v30, v88, v30
	v_add_f32_e32 v31, v89, v31
	;; [unrolled: 1-line block ×4, first 2 shown]
	v_fma_f32 v89, 0x3f6eb680, v85, -v199
	v_add_f32_e32 v87, v25, v16
	v_mul_f32_e32 v103, 0x3f65296c, v109
	v_mul_f32_e32 v97, 0xbf7ee86f, v109
	v_add_f32_e32 v28, v90, v28
	v_mul_f32_e32 v100, 0x3f6eb680, v106
	v_sub_f32_e32 v88, v16, v25
	v_mul_f32_e32 v108, 0x3ee437d1, v161
	v_fma_f32 v165, 0x3ee437d1, v87, -v103
	v_add_f32_e32 v30, v89, v30
	v_fma_f32 v166, 0x3dbcf732, v87, -v97
	v_fmamk_f32 v90, v86, 0xbeb8f4ab, v100
	v_fmamk_f32 v89, v88, 0x3f65296c, v108
	v_add_f32_e32 v28, v165, v28
	v_mul_f32_e32 v101, 0x3dbcf732, v161
	v_add_f32_e32 v170, v166, v30
	v_sub_f32_e32 v165, v178, v27
	v_add_f32_e32 v166, v27, v178
	v_add_f32_e32 v31, v90, v31
	;; [unrolled: 1-line block ×3, first 2 shown]
	v_fmamk_f32 v30, v88, 0xbf7ee86f, v101
	v_add_f32_e32 v89, v11, v9
	v_sub_f32_e32 v90, v9, v11
	v_mul_f32_e32 v195, 0x3eb8f4ab, v165
	v_mul_f32_e32 v196, 0x3f6eb680, v166
	;; [unrolled: 1-line block ×4, first 2 shown]
	v_add_f32_e32 v207, v30, v31
	v_fma_f32 v30, 0x3f6eb680, v89, -v195
	v_fmamk_f32 v31, v90, 0x3eb8f4ab, v196
	v_fma_f32 v208, 0xbf59a7d5, v89, -v96
	v_fmamk_f32 v209, v90, 0xbf06c442, v107
	s_barrier
	v_add_f32_e32 v30, v30, v28
	v_add_f32_e32 v31, v31, v29
	;; [unrolled: 1-line block ×4, first 2 shown]
	buffer_gl0_inv
	s_and_saveexec_b32 s1, s0
	s_cbranch_execz .LBB0_25
; %bb.24:
	v_mul_f32_e32 v207, 0xbf65296c, v1
	v_mul_f32_e32 v210, 0xbf7ba420, v203
	;; [unrolled: 1-line block ×4, first 2 shown]
	buffer_store_dword v75, off, s[16:19], 0 offset:40 ; 4-byte Folded Spill
	v_sub_f32_e32 v170, v206, v207
	v_mul_f32_e32 v206, 0x3ee437d1, v201
	v_fmamk_f32 v213, v1, 0x3e3c28d5, v210
	v_fmac_f32_e32 v210, 0xbe3c28d5, v1
	v_fmamk_f32 v223, v201, 0xbf7ba420, v220
	v_fma_f32 v220, 0xbf7ba420, v201, -v220
	v_add_f32_e32 v0, v206, v0
	v_mul_f32_e32 v206, 0xbf2c7751, v1
	v_mul_f32_e32 v208, 0xbf763a35, v1
	v_fmamk_f32 v214, v1, 0x3f4c4adb, v211
	v_fmac_f32_e32 v211, 0xbf4c4adb, v1
	v_add_f32_e32 v227, v72, v0
	v_add_f32_e32 v0, v200, v73
	v_sub_f32_e32 v205, v205, v206
	v_mul_f32_e32 v206, 0x3f3d2fb0, v201
	buffer_store_dword v0, off, s[16:19], 0 offset:44 ; 4-byte Folded Spill
	buffer_store_dword v10, off, s[16:19], 0 offset:32 ; 4-byte Folded Spill
	;; [unrolled: 1-line block ×3, first 2 shown]
	v_add_f32_e32 v0, v73, v210
	v_add_f32_e32 v204, v206, v204
	v_mul_f32_e32 v206, 0xbf06c442, v1
	v_mul_f32_e32 v221, 0xbf4c4adb, v202
	v_fmamk_f32 v209, v203, 0xbe8c1d8e, v208
	buffer_store_dword v0, off, s[16:19], 0 offset:28 ; 4-byte Folded Spill
	v_add_f32_e32 v0, v72, v220
	v_fmamk_f32 v207, v203, 0xbf59a7d5, v206
	v_fma_f32 v206, 0xbf59a7d5, v203, -v206
	v_fma_f32 v208, 0xbe8c1d8e, v203, -v208
	v_mul_f32_e32 v212, 0x3dbcf732, v203
	v_mul_f32_e32 v203, 0x3f6eb680, v203
	v_fmamk_f32 v224, v201, 0xbf1a4643, v221
	v_fma_f32 v221, 0xbf1a4643, v201, -v221
	buffer_store_dword v0, off, s[16:19], 0 offset:24 ; 4-byte Folded Spill
	v_add_f32_e32 v0, v73, v211
	v_fmamk_f32 v215, v1, 0x3f7ee86f, v212
	v_fmac_f32_e32 v212, 0xbf7ee86f, v1
	v_fmamk_f32 v216, v1, 0x3eb8f4ab, v203
	v_fmac_f32_e32 v203, 0xbeb8f4ab, v1
	v_mul_f32_e32 v1, 0xbf06c442, v202
	v_mul_f32_e32 v218, 0xbf763a35, v202
	;; [unrolled: 1-line block ×4, first 2 shown]
	buffer_store_dword v0, off, s[16:19], 0 offset:20 ; 4-byte Folded Spill
	v_add_f32_e32 v0, v72, v221
	v_mul_f32_e32 v233, 0x3f06c442, v3
	v_fma_f32 v217, 0xbf59a7d5, v201, -v1
	v_fmac_f32_e32 v1, 0xbf59a7d5, v201
	v_fma_f32 v219, 0xbe8c1d8e, v201, -v218
	v_fmac_f32_e32 v218, 0xbe8c1d8e, v201
	v_fmamk_f32 v225, v201, 0x3dbcf732, v222
	v_fma_f32 v222, 0x3dbcf732, v201, -v222
	v_fmamk_f32 v226, v201, 0x3f6eb680, v202
	v_fma_f32 v201, 0x3f6eb680, v201, -v202
	v_add_f32_e32 v202, v73, v209
	buffer_store_dword v0, off, s[16:19], 0 offset:16 ; 4-byte Folded Spill
	v_fmamk_f32 v0, v92, 0xbf59a7d5, v233
	v_mul_f32_e32 v234, 0x3f2c7751, v5
	v_add_f32_e32 v209, v72, v219
	v_add_f32_e32 v219, v72, v223
	;; [unrolled: 1-line block ×4, first 2 shown]
	v_fmamk_f32 v1, v94, 0x3f3d2fb0, v234
	v_mul_f32_e32 v235, 0xbf65296c, v7
	v_mul_f32_e32 v236, 0xbe3c28d5, v78
	;; [unrolled: 1-line block ×3, first 2 shown]
	v_add_f32_e32 v217, v72, v217
	v_add_f32_e32 v0, v1, v0
	v_fmamk_f32 v1, v98, 0x3ee437d1, v235
	v_add_f32_e32 v224, v72, v224
	v_add_f32_e32 v218, v72, v218
	;; [unrolled: 1-line block ×5, first 2 shown]
	v_fmamk_f32 v1, v102, 0xbf7ba420, v236
	v_mov_b32_e32 v10, v18
	v_mov_b32_e32 v18, v19
	v_add_f32_e32 v19, v72, v197
	v_add_f32_e32 v8, v72, v226
	;; [unrolled: 1-line block ×3, first 2 shown]
	v_fma_f32 v1, 0xbf59a7d5, v2, -v237
	v_add_f32_e32 v114, v72, v222
	v_add_f32_e32 v113, v72, v201
	v_mul_f32_e32 v238, 0x3f2c7751, v93
	v_mul_f32_e32 v239, 0xbeb8f4ab, v88
	v_add_f32_e32 v1, v1, v209
	v_mul_f32_e32 v209, 0x3f7ee86f, v86
	v_mul_f32_e32 v240, 0xbf65296c, v95
	;; [unrolled: 1-line block ×5, first 2 shown]
	v_fmamk_f32 v72, v106, 0x3dbcf732, v209
	v_mul_f32_e32 v244, 0xbf4c4adb, v90
	v_mul_f32_e32 v245, 0xbf4c4adb, v165
	;; [unrolled: 1-line block ×3, first 2 shown]
	v_add_f32_e32 v207, v73, v207
	v_add_f32_e32 v0, v72, v0
	v_fma_f32 v72, 0x3f3d2fb0, v4, -v238
	v_add_f32_e32 v112, v73, v203
	v_mul_f32_e32 v203, 0xbf7ee86f, v5
	v_add_f32_e32 v213, v73, v213
	v_add_f32_e32 v206, v73, v206
	;; [unrolled: 1-line block ×3, first 2 shown]
	v_fmamk_f32 v72, v161, 0x3f6eb680, v239
	v_add_f32_e32 v214, v73, v214
	v_add_f32_e32 v208, v73, v208
	;; [unrolled: 1-line block ×5, first 2 shown]
	v_fma_f32 v72, 0x3ee437d1, v6, -v240
	v_add_f32_e32 v228, v73, v205
	v_add_f32_e32 v75, v73, v216
	;; [unrolled: 1-line block ×3, first 2 shown]
	v_fmamk_f32 v73, v94, 0x3dbcf732, v203
	v_add_f32_e32 v1, v72, v1
	v_fma_f32 v72, 0xbf7ba420, v77, -v241
	v_mul_f32_e32 v204, 0x3f4c4adb, v7
	v_mul_f32_e32 v205, 0xbeb8f4ab, v78
	v_mul_f32_e32 v246, 0xbf7ee86f, v93
	v_mul_f32_e32 v247, 0x3f2c7751, v88
	v_add_f32_e32 v1, v72, v1
	v_fma_f32 v72, 0x3dbcf732, v85, -v242
	v_mul_f32_e32 v248, 0x3f4c4adb, v95
	v_mul_f32_e32 v249, 0xbeb8f4ab, v99
	v_mul_f32_e32 v250, 0xbe3c28d5, v105
	v_mul_f32_e32 v251, 0x3f2c7751, v109
	;; [unrolled: 6-line block ×3, first 2 shown]
	v_add_f32_e32 v72, v72, v1
	v_fmamk_f32 v1, v166, 0xbf1a4643, v244
	v_mov_b32_e32 v226, v179
	v_mul_f32_e32 v179, 0xbf1a4643, v102
	v_mov_b32_e32 v222, v180
	v_mul_f32_e32 v180, 0x3eb8f4ab, v91
	v_add_f32_e32 v1, v1, v0
	v_fma_f32 v0, 0xbf1a4643, v89, -v245
	v_mov_b32_e32 v230, v181
	v_mov_b32_e32 v220, v182
	v_mul_f32_e32 v182, 0xbf06c442, v93
	v_mov_b32_e32 v221, v183
	v_add_f32_e32 v0, v0, v72
	v_fmamk_f32 v72, v92, 0x3ee437d1, v202
	v_mul_f32_e32 v183, 0x3f2c7751, v95
	v_mov_b32_e32 v231, v184
	v_mul_f32_e32 v184, 0xbe8c1d8e, v161
	v_mov_b32_e32 v232, v185
	v_add_f32_e32 v72, v72, v207
	v_mul_f32_e32 v207, 0x3f65296c, v91
	v_mul_f32_e32 v185, 0xbf4c4adb, v99
	v_mov_b32_e32 v216, v186
	v_mul_f32_e32 v186, 0x3f65296c, v105
	v_add_f32_e32 v72, v73, v72
	v_fmamk_f32 v73, v98, 0xbf1a4643, v204
	v_mov_b32_e32 v210, v187
	v_mul_f32_e32 v187, 0xbf763a35, v109
	v_mov_b32_e32 v212, v188
	v_mul_f32_e32 v188, 0x3dbcf732, v166
	v_add_f32_e32 v72, v73, v72
	v_fmamk_f32 v73, v102, 0x3f6eb680, v205
	v_mov_b32_e32 v211, v189
	v_mov_b32_e32 v197, v190
	v_mul_f32_e32 v190, 0x3f65296c, v165
	v_fmac_f32_e32 v237, 0xbf59a7d5, v2
	v_add_f32_e32 v72, v73, v72
	v_fma_f32 v73, 0x3ee437d1, v2, -v207
	v_fmac_f32_e32 v207, 0x3ee437d1, v2
	v_fmac_f32_e32 v238, 0x3f3d2fb0, v4
	;; [unrolled: 1-line block ×4, first 2 shown]
	v_add_f32_e32 v73, v73, v217
	v_mul_f32_e32 v217, 0xbe3c28d5, v86
	v_fmac_f32_e32 v242, 0x3dbcf732, v85
	v_fmac_f32_e32 v243, 0x3f6eb680, v87
	v_fmac_f32_e32 v245, 0xbf1a4643, v89
	v_add_f32_e32 v104, v104, v19
	v_fmamk_f32 v200, v106, 0xbf7ba420, v217
	v_add_f32_e32 v74, v74, v104
	v_add_f32_e32 v72, v200, v72
	v_fma_f32 v200, 0x3dbcf732, v4, -v246
	v_fmac_f32_e32 v246, 0x3dbcf732, v4
	v_add_f32_e32 v21, v21, v74
	v_add_f32_e32 v73, v200, v73
	v_fmamk_f32 v200, v161, 0x3f3d2fb0, v247
	v_add_f32_e32 v72, v200, v72
	v_fma_f32 v200, 0xbf1a4643, v6, -v248
	v_fmac_f32_e32 v248, 0xbf1a4643, v6
	v_add_f32_e32 v73, v200, v73
	v_fma_f32 v200, 0x3f6eb680, v77, -v249
	v_fmac_f32_e32 v249, 0x3f6eb680, v77
	;; [unrolled: 3-line block ×4, first 2 shown]
	v_add_f32_e32 v200, v200, v73
	v_fmamk_f32 v73, v166, 0xbe8c1d8e, v252
	v_add_f32_e32 v73, v73, v72
	v_fma_f32 v72, 0xbe8c1d8e, v89, -v253
	v_fmac_f32_e32 v253, 0xbe8c1d8e, v89
	v_add_f32_e32 v72, v72, v200
	v_fmamk_f32 v200, v3, 0xbeb8f4ab, v254
	v_fmac_f32_e32 v254, 0x3eb8f4ab, v3
	v_add_f32_e32 v200, v200, v213
	v_mul_f32_e32 v213, 0xbf59a7d5, v94
	v_fmamk_f32 v201, v5, 0x3f06c442, v213
	v_fmac_f32_e32 v213, 0xbf06c442, v5
	v_add_f32_e32 v200, v201, v200
	v_fmamk_f32 v201, v7, 0xbf2c7751, v255
	v_fmac_f32_e32 v255, 0x3f2c7751, v7
	v_add_f32_e32 v200, v201, v200
	;; [unrolled: 3-line block ×3, first 2 shown]
	v_fmamk_f32 v201, v2, 0x3f6eb680, v180
	v_add_f32_e32 v201, v201, v219
	v_mul_f32_e32 v219, 0x3ee437d1, v106
	v_fmamk_f32 v181, v86, 0xbf65296c, v219
	v_fmac_f32_e32 v219, 0x3f65296c, v86
	v_add_f32_e32 v181, v181, v200
	v_fmamk_f32 v200, v4, 0xbf59a7d5, v182
	v_add_f32_e32 v200, v200, v201
	v_fmamk_f32 v201, v6, 0x3f3d2fb0, v183
	;; [unrolled: 2-line block ×3, first 2 shown]
	v_fmac_f32_e32 v184, 0xbf763a35, v88
	v_add_f32_e32 v181, v201, v181
	v_fmamk_f32 v201, v77, 0xbf1a4643, v185
	v_add_f32_e32 v200, v201, v200
	v_fmamk_f32 v201, v85, 0x3ee437d1, v186
	;; [unrolled: 2-line block ×4, first 2 shown]
	v_fmac_f32_e32 v188, 0x3f7ee86f, v90
	v_add_f32_e32 v201, v201, v181
	v_mul_f32_e32 v181, 0x3f7ee86f, v165
	v_fmamk_f32 v189, v89, 0x3dbcf732, v181
	v_add_f32_e32 v200, v189, v200
	v_fma_f32 v189, 0x3ee437d1, v92, -v202
	v_fma_f32 v202, 0x3dbcf732, v94, -v203
	;; [unrolled: 1-line block ×3, first 2 shown]
	v_add_f32_e32 v189, v189, v206
	v_add_f32_e32 v189, v202, v189
	v_fma_f32 v202, 0xbf1a4643, v98, -v204
	v_add_f32_e32 v189, v202, v189
	v_add_f32_e32 v202, v207, v223
	v_mul_f32_e32 v223, 0x3dbcf732, v102
	v_fma_f32 v207, 0x3f3d2fb0, v94, -v234
	v_mul_f32_e32 v234, 0xbe3c28d5, v91
	v_add_f32_e32 v189, v203, v189
	v_fma_f32 v203, 0xbf7ba420, v106, -v217
	v_mul_f32_e32 v217, 0xbf59a7d5, v98
	v_add_f32_e32 v202, v246, v202
	v_mul_f32_e32 v246, 0x3f3d2fb0, v106
	v_add_f32_e32 v189, v203, v189
	v_fma_f32 v203, 0x3f3d2fb0, v161, -v247
	v_mul_f32_e32 v247, 0x3f763a35, v91
	v_add_f32_e32 v202, v248, v202
	v_mul_f32_e32 v248, 0xbeb8f4ab, v93
	v_add_f32_e32 v189, v203, v189
	v_fma_f32 v203, 0xbe8c1d8e, v166, -v252
	v_add_f32_e32 v202, v249, v202
	v_mul_f32_e32 v249, 0xbf06c442, v95
	v_mul_f32_e32 v252, 0xbe3c28d5, v109
	v_add_f32_e32 v203, v203, v189
	v_mul_f32_e32 v189, 0xbe8c1d8e, v92
	v_add_f32_e32 v202, v250, v202
	v_mul_f32_e32 v250, 0x3f7ee86f, v99
	v_fmamk_f32 v204, v3, 0xbf763a35, v189
	v_add_f32_e32 v202, v251, v202
	v_mul_f32_e32 v251, 0xbf2c7751, v105
	v_fmac_f32_e32 v189, 0x3f763a35, v3
	v_add_f32_e32 v204, v204, v214
	v_mul_f32_e32 v214, 0x3f6eb680, v94
	v_add_f32_e32 v202, v253, v202
	v_mul_f32_e32 v253, 0x3ee437d1, v166
	v_fmamk_f32 v205, v5, 0x3eb8f4ab, v214
	v_fmac_f32_e32 v214, 0xbeb8f4ab, v5
	v_add_f32_e32 v204, v205, v204
	v_fmamk_f32 v205, v7, 0x3f06c442, v217
	v_fmac_f32_e32 v217, 0xbf06c442, v7
	v_add_f32_e32 v204, v205, v204
	;; [unrolled: 3-line block ×4, first 2 shown]
	v_fmamk_f32 v205, v2, 0xbe8c1d8e, v247
	v_add_f32_e32 v205, v205, v224
	v_mul_f32_e32 v224, 0xbf7ba420, v161
	v_fmamk_f32 v206, v88, 0x3e3c28d5, v224
	v_fmac_f32_e32 v224, 0xbe3c28d5, v88
	v_add_f32_e32 v204, v206, v204
	v_fmamk_f32 v206, v4, 0x3f6eb680, v248
	v_add_f32_e32 v205, v206, v205
	v_fmamk_f32 v206, v6, 0xbf59a7d5, v249
	;; [unrolled: 2-line block ×6, first 2 shown]
	v_fmac_f32_e32 v253, 0x3f65296c, v90
	v_add_f32_e32 v205, v205, v204
	v_fmamk_f32 v204, v89, 0x3ee437d1, v190
	v_add_f32_e32 v204, v204, v206
	v_fma_f32 v206, 0xbf59a7d5, v92, -v233
	v_mul_f32_e32 v233, 0x3f6eb680, v98
	v_add_f32_e32 v206, v206, v208
	v_fma_f32 v208, 0x3ee437d1, v98, -v235
	v_mul_f32_e32 v98, 0x3dbcf732, v98
	v_add_f32_e32 v206, v207, v206
	v_add_f32_e32 v207, v237, v218
	v_mul_f32_e32 v218, 0xbf7ba420, v92
	v_add_f32_e32 v206, v208, v206
	v_add_f32_e32 v207, v238, v207
	v_fma_f32 v208, 0xbf7ba420, v102, -v236
	v_add_f32_e32 v207, v240, v207
	v_add_f32_e32 v206, v208, v206
	v_fma_f32 v208, 0x3dbcf732, v106, -v209
	;; [unrolled: 3-line block ×3, first 2 shown]
	v_add_f32_e32 v207, v242, v207
	v_add_f32_e32 v206, v208, v206
	;; [unrolled: 1-line block ×3, first 2 shown]
	v_fma_f32 v207, 0xbf1a4643, v166, -v244
	v_mul_f32_e32 v243, 0x3f3d2fb0, v166
	v_mul_f32_e32 v244, 0x3f2c7751, v165
	v_add_f32_e32 v207, v207, v206
	v_add_f32_e32 v206, v245, v208
	v_fmamk_f32 v208, v3, 0x3e3c28d5, v218
	v_fmac_f32_e32 v218, 0xbe3c28d5, v3
	v_add_f32_e32 v208, v208, v215
	v_mul_f32_e32 v215, 0xbe8c1d8e, v94
	v_mul_f32_e32 v94, 0x3ee437d1, v94
	v_fmamk_f32 v209, v5, 0xbf763a35, v215
	v_fmac_f32_e32 v215, 0x3f763a35, v5
	v_add_f32_e32 v208, v209, v208
	v_fmamk_f32 v209, v7, 0xbeb8f4ab, v233
	v_fmac_f32_e32 v233, 0x3eb8f4ab, v7
	v_add_f32_e32 v208, v209, v208
	v_fmamk_f32 v209, v2, 0xbf7ba420, v234
	v_add_f32_e32 v209, v209, v225
	v_mul_f32_e32 v225, 0x3ee437d1, v102
	v_fmamk_f32 v235, v78, 0x3f65296c, v225
	v_fmac_f32_e32 v225, 0xbf65296c, v78
	v_add_f32_e32 v208, v235, v208
	v_mul_f32_e32 v235, 0x3f763a35, v93
	v_mul_f32_e32 v93, 0xbf65296c, v93
	v_fmamk_f32 v236, v4, 0xbe8c1d8e, v235
	v_add_f32_e32 v209, v236, v209
	v_mul_f32_e32 v236, 0xbf59a7d5, v106
	v_fmamk_f32 v237, v86, 0x3f06c442, v236
	v_fmac_f32_e32 v236, 0xbf06c442, v86
	v_add_f32_e32 v208, v237, v208
	v_mul_f32_e32 v237, 0x3eb8f4ab, v95
	v_mul_f32_e32 v95, 0xbf7ee86f, v95
	v_fmamk_f32 v238, v6, 0x3f6eb680, v237
	v_add_f32_e32 v209, v238, v209
	v_mul_f32_e32 v238, 0xbf1a4643, v161
	v_fmamk_f32 v239, v88, 0xbf4c4adb, v238
	v_fmac_f32_e32 v238, 0x3f4c4adb, v88
	v_add_f32_e32 v208, v239, v208
	v_mul_f32_e32 v239, 0xbf65296c, v99
	v_mul_f32_e32 v99, 0xbf763a35, v99
	v_fmamk_f32 v240, v77, 0x3ee437d1, v239
	v_add_f32_e32 v209, v240, v209
	v_mul_f32_e32 v240, 0xbf06c442, v105
	v_mul_f32_e32 v105, 0xbf4c4adb, v105
	v_fmamk_f32 v241, v85, 0xbf59a7d5, v240
	v_add_f32_e32 v209, v241, v209
	v_mul_f32_e32 v241, 0x3f4c4adb, v109
	v_fmamk_f32 v242, v87, 0xbf1a4643, v241
	v_add_f32_e32 v242, v242, v209
	v_fmamk_f32 v209, v90, 0xbf2c7751, v243
	v_fmac_f32_e32 v243, 0x3f2c7751, v90
	v_add_f32_e32 v209, v209, v208
	v_fmamk_f32 v208, v89, 0x3f3d2fb0, v244
	v_add_f32_e32 v208, v208, v242
	v_mul_f32_e32 v242, 0xbf4c4adb, v3
	v_sub_f32_e32 v111, v111, v242
	v_add_f32_e32 v111, v111, v170
	v_mul_f32_e32 v170, 0x3e3c28d5, v5
	v_sub_f32_e32 v170, v171, v170
	v_mul_f32_e32 v171, 0xbf1a4643, v2
	v_add_f32_e32 v111, v170, v111
	v_add_f32_e32 v110, v171, v110
	v_mul_f32_e32 v170, 0x3f763a35, v7
	v_mul_f32_e32 v171, 0xbf7ba420, v4
	v_add_f32_e32 v110, v110, v227
	v_sub_f32_e32 v170, v164, v170
	v_add_f32_e32 v164, v171, v83
	v_add_f32_e32 v111, v170, v111
	;; [unrolled: 1-line block ×3, first 2 shown]
	v_mul_f32_e32 v164, 0xbe8c1d8e, v6
	v_mul_f32_e32 v170, 0x3f2c7751, v78
	v_add_f32_e32 v164, v164, v193
	v_sub_f32_e32 v170, v198, v170
	v_add_f32_e32 v110, v164, v110
	v_mul_f32_e32 v164, 0x3f3d2fb0, v77
	v_add_f32_e32 v111, v170, v111
	v_mul_f32_e32 v170, 0xbeb8f4ab, v86
	v_add_f32_e32 v164, v164, v194
	v_sub_f32_e32 v170, v100, v170
	v_add_f32_e32 v110, v164, v110
	v_mul_f32_e32 v164, 0x3f6eb680, v85
	v_add_f32_e32 v111, v170, v111
	;; [unrolled: 6-line block ×3, first 2 shown]
	v_mul_f32_e32 v170, 0xbf06c442, v90
	v_add_f32_e32 v164, v164, v97
	v_sub_f32_e32 v170, v107, v170
	v_mul_f32_e32 v107, 0x3dbcf732, v2
	v_add_f32_e32 v110, v164, v110
	v_mul_f32_e32 v164, 0xbf59a7d5, v89
	v_add_f32_e32 v111, v170, v111
	v_add_f32_e32 v164, v164, v96
	;; [unrolled: 1-line block ×4, first 2 shown]
	v_mul_f32_e32 v164, 0xbf7ee86f, v3
	v_add_f32_e32 v96, v96, v229
	v_sub_f32_e32 v97, v163, v164
	v_mul_f32_e32 v164, 0xbf4c4adb, v5
	v_add_f32_e32 v97, v97, v228
	v_sub_f32_e32 v101, v173, v164
	v_add_f32_e32 v97, v101, v97
	v_mul_f32_e32 v101, 0xbe3c28d5, v7
	v_sub_f32_e32 v101, v175, v101
	v_add_f32_e32 v97, v101, v97
	v_mul_f32_e32 v101, 0x3f06c442, v78
	;; [unrolled: 3-line block ×3, first 2 shown]
	v_add_f32_e32 v100, v101, v172
	v_mul_f32_e32 v101, 0x3f763a35, v86
	v_add_f32_e32 v96, v100, v96
	v_mul_f32_e32 v100, 0xbf7ba420, v6
	v_sub_f32_e32 v101, v192, v101
	v_add_f32_e32 v100, v100, v174
	v_add_f32_e32 v97, v101, v97
	v_mul_f32_e32 v101, 0x3f65296c, v88
	v_add_f32_e32 v96, v100, v96
	v_mul_f32_e32 v100, 0xbf59a7d5, v77
	v_sub_f32_e32 v101, v108, v101
	v_add_f32_e32 v100, v100, v22
	;; [unrolled: 6-line block ×3, first 2 shown]
	v_add_f32_e32 v97, v101, v97
	v_fmamk_f32 v101, v5, 0x3f65296c, v94
	v_fmac_f32_e32 v94, 0xbf65296c, v5
	v_add_f32_e32 v96, v100, v96
	v_mul_f32_e32 v100, 0x3ee437d1, v87
	v_add_f32_e32 v100, v100, v103
	v_add_f32_e32 v96, v100, v96
	v_mul_f32_e32 v100, 0x3f6eb680, v89
	v_add_f32_e32 v100, v100, v195
	v_add_f32_e32 v96, v100, v96
	v_mul_f32_e32 v100, 0x3f3d2fb0, v92
	v_fmamk_f32 v92, v3, 0x3f2c7751, v100
	v_fmac_f32_e32 v100, 0xbf2c7751, v3
	v_add_f32_e32 v92, v92, v75
	v_add_f32_e32 v92, v101, v92
	v_fmamk_f32 v101, v7, 0x3f7ee86f, v98
	v_fmac_f32_e32 v98, 0xbf7ee86f, v7
	v_fma_f32 v7, 0xbf59a7d5, v85, -v240
	v_add_f32_e32 v92, v101, v92
	v_mul_f32_e32 v101, 0xbe8c1d8e, v102
	v_fmamk_f32 v102, v78, 0x3f763a35, v101
	v_fmac_f32_e32 v101, 0xbf763a35, v78
	v_add_f32_e32 v92, v102, v92
	v_mul_f32_e32 v102, 0xbf1a4643, v106
	v_mul_f32_e32 v106, 0xbf59a7d5, v161
	v_fmamk_f32 v103, v86, 0x3f4c4adb, v102
	v_fmamk_f32 v107, v88, 0x3f06c442, v106
	v_fmac_f32_e32 v102, 0xbf4c4adb, v86
	v_fmac_f32_e32 v106, 0xbf06c442, v88
	v_add_f32_e32 v92, v103, v92
	v_mul_f32_e32 v103, 0xbf2c7751, v91
	v_add_f32_e32 v92, v107, v92
	v_fmamk_f32 v91, v2, 0x3f3d2fb0, v103
	v_fmamk_f32 v107, v4, 0x3ee437d1, v93
	v_add_f32_e32 v91, v91, v8
	s_clause 0x1
	buffer_load_dword v8, off, s[16:19], 0 offset:40
	buffer_load_dword v22, off, s[16:19], 0 offset:44
	v_add_f32_e32 v91, v107, v91
	v_fmamk_f32 v107, v6, 0x3dbcf732, v95
	v_add_f32_e32 v91, v107, v91
	v_fmamk_f32 v107, v77, 0xbe8c1d8e, v99
	;; [unrolled: 2-line block ×3, first 2 shown]
	v_add_f32_e32 v91, v107, v91
	v_mul_f32_e32 v107, 0xbf06c442, v109
	v_mul_f32_e32 v109, 0xbe3c28d5, v165
	v_fmamk_f32 v108, v87, 0xbf59a7d5, v107
	v_add_f32_e32 v91, v108, v91
	v_mul_f32_e32 v108, 0xbf7ba420, v166
	v_fmamk_f32 v161, v90, 0x3e3c28d5, v108
	v_fmac_f32_e32 v108, 0xbe3c28d5, v90
	v_add_f32_e32 v92, v161, v92
	v_fmamk_f32 v161, v89, 0xbf7ba420, v109
	v_add_f32_e32 v91, v161, v91
	s_waitcnt vmcnt(0)
	v_add_f32_e32 v75, v8, v22
	buffer_load_dword v8, off, s[16:19], 0 offset:36 ; 4-byte Folded Reload
	v_add_f32_e32 v20, v20, v75
	v_add_f32_e32 v20, v177, v20
	;; [unrolled: 1-line block ×5, first 2 shown]
	buffer_load_dword v10, off, s[16:19], 0 offset:32 ; 4-byte Folded Reload
	v_add_f32_e32 v17, v17, v20
	v_add_f32_e32 v16, v16, v17
	v_fma_f32 v17, 0x3ee437d1, v89, -v190
	v_mov_b32_e32 v190, v197
	v_add_f32_e32 v9, v9, v16
	v_fma_f32 v16, 0xbe8c1d8e, v4, -v235
	v_add_f32_e32 v9, v11, v9
	v_fma_f32 v11, 0x3f6eb680, v2, -v180
	v_mov_b32_e32 v180, v222
	v_add_f32_e32 v9, v25, v9
	v_add_f32_e32 v9, v24, v9
	;; [unrolled: 1-line block ×3, first 2 shown]
	v_fma_f32 v13, 0x3dbcf732, v89, -v181
	v_mov_b32_e32 v181, v230
	v_add_f32_e32 v9, v80, v9
	v_add_f32_e32 v9, v84, v9
	s_waitcnt vmcnt(1)
	v_add_f32_e32 v8, v8, v18
	v_fma_f32 v18, 0x3f6eb680, v6, -v237
	v_add_f32_e32 v8, v178, v8
	v_add_f32_e32 v8, v27, v8
	;; [unrolled: 1-line block ×6, first 2 shown]
	s_waitcnt vmcnt(0)
	v_add_f32_e32 v8, v10, v8
	v_add_f32_e32 v10, v76, v9
	;; [unrolled: 1-line block ×3, first 2 shown]
	buffer_load_dword v12, off, s[16:19], 0 offset:24 ; 4-byte Folded Reload
	v_add_f32_e32 v9, v15, v8
	v_add_f32_e32 v8, v14, v10
	s_clause 0x1
	buffer_load_dword v10, off, s[16:19], 0 offset:28
	buffer_load_dword v14, off, s[16:19], 0 offset:16
	s_waitcnt vmcnt(2)
	v_add_f32_e32 v11, v11, v12
	v_fma_f32 v12, 0xbf59a7d5, v4, -v182
	v_mov_b32_e32 v182, v220
	s_waitcnt vmcnt(1)
	v_add_f32_e32 v10, v254, v10
	v_add_f32_e32 v11, v12, v11
	v_fma_f32 v12, 0x3f3d2fb0, v6, -v183
	v_mov_b32_e32 v183, v221
	v_add_f32_e32 v10, v213, v10
	v_add_f32_e32 v11, v12, v11
	v_fma_f32 v12, 0xbf1a4643, v77, -v185
	v_mov_b32_e32 v185, v232
	v_add_f32_e32 v10, v255, v10
	v_add_f32_e32 v11, v12, v11
	v_fma_f32 v12, 0x3ee437d1, v85, -v186
	v_add_f32_e32 v10, v179, v10
	v_mov_b32_e32 v179, v226
	v_mov_b32_e32 v186, v216
	v_add_f32_e32 v11, v12, v11
	v_add_f32_e32 v10, v219, v10
	v_fma_f32 v12, 0xbe8c1d8e, v87, -v187
	v_mov_b32_e32 v187, v210
	v_add_f32_e32 v10, v184, v10
	v_add_f32_e32 v12, v12, v11
	v_mov_b32_e32 v184, v231
	v_add_f32_e32 v11, v188, v10
	v_add_f32_e32 v10, v13, v12
	buffer_load_dword v12, off, s[16:19], 0 offset:20 ; 4-byte Folded Reload
	v_fma_f32 v13, 0xbe8c1d8e, v2, -v247
	v_mov_b32_e32 v188, v212
	s_waitcnt vmcnt(1)
	v_add_f32_e32 v13, v13, v14
	v_fma_f32 v14, 0x3f6eb680, v4, -v248
	v_fma_f32 v4, 0x3ee437d1, v4, -v93
	v_add_f32_e32 v13, v14, v13
	v_fma_f32 v14, 0xbf59a7d5, v6, -v249
	v_add_f32_e32 v13, v14, v13
	;; [unrolled: 2-line block ×5, first 2 shown]
	v_add_f32_e32 v13, v218, v115
	v_add_f32_e32 v13, v215, v13
	;; [unrolled: 1-line block ×4, first 2 shown]
	v_fma_f32 v13, 0xbf7ba420, v2, -v234
	v_fma_f32 v2, 0x3f3d2fb0, v2, -v103
	v_add_f32_e32 v13, v13, v114
	v_add_f32_e32 v2, v2, v113
	;; [unrolled: 1-line block ×4, first 2 shown]
	v_fma_f32 v4, 0x3dbcf732, v6, -v95
	v_add_f32_e32 v3, v18, v16
	v_add_f32_e32 v16, v100, v112
	;; [unrolled: 1-line block ×3, first 2 shown]
	v_fma_f32 v4, 0xbe8c1d8e, v77, -v99
	v_add_f32_e32 v2, v4, v2
	v_fma_f32 v4, 0xbf1a4643, v85, -v105
	v_add_f32_e32 v2, v4, v2
	v_fma_f32 v4, 0xbf59a7d5, v87, -v107
	v_add_f32_e32 v4, v4, v2
	s_waitcnt vmcnt(0)
	v_add_f32_e32 v12, v189, v12
	v_mov_b32_e32 v189, v211
	v_add_f32_e32 v12, v214, v12
	v_add_f32_e32 v12, v217, v12
	;; [unrolled: 1-line block ×8, first 2 shown]
	v_fma_f32 v15, 0x3ee437d1, v77, -v239
	v_add_f32_e32 v5, v238, v14
	v_add_f32_e32 v14, v94, v16
	;; [unrolled: 1-line block ×3, first 2 shown]
	v_and_b32_e32 v15, 1, v168
	v_fma_f32 v16, 0xbf7ba420, v89, -v109
	v_add_f32_e32 v6, v98, v14
	v_add_f32_e32 v3, v7, v3
	v_fma_f32 v7, 0xbf1a4643, v87, -v241
	v_lshrrev_b32_e32 v14, 1, v168
	v_add_f32_e32 v4, v16, v4
	v_add_f32_e32 v6, v101, v6
	;; [unrolled: 1-line block ×4, first 2 shown]
	v_mul_u32_u24_e32 v6, 34, v14
	v_fma_f32 v14, 0x3f3d2fb0, v89, -v244
	v_or_b32_e32 v6, v6, v15
	v_add_f32_e32 v15, v106, v3
	v_add_f32_e32 v3, v243, v5
	;; [unrolled: 1-line block ×3, first 2 shown]
	v_lshl_add_u32 v6, v6, 3, v169
	v_add_f32_e32 v5, v108, v15
	ds_write2_b64 v6, v[8:9], v[91:92] offset1:2
	ds_write2_b64 v6, v[96:97], v[110:111] offset0:4 offset1:6
	ds_write2_b64 v6, v[208:209], v[206:207] offset0:8 offset1:10
	;; [unrolled: 1-line block ×7, first 2 shown]
	ds_write_b64 v6, v[4:5] offset:256
.LBB0_25:
	s_or_b32 exec_lo, exec_lo, s1
	v_add_nc_u32_e32 v4, 0x800, v167
	v_add_nc_u32_e32 v5, 0x1000, v167
	;; [unrolled: 1-line block ×4, first 2 shown]
	s_waitcnt lgkmcnt(0)
	s_waitcnt_vscnt null, 0x0
	s_barrier
	buffer_gl0_inv
	ds_read2_b64 v[8:11], v167 offset1:68
	ds_read2_b64 v[0:3], v4 offset0:152 offset1:254
	ds_read2_b64 v[24:27], v5 offset0:66 offset1:134
	;; [unrolled: 1-line block ×6, first 2 shown]
	s_and_saveexec_b32 s0, vcc_lo
	s_cbranch_execz .LBB0_27
; %bb.26:
	ds_read_b64 v[28:29], v167 offset:3808
	ds_read_b64 v[30:31], v167 offset:7888
.LBB0_27:
	s_or_b32 exec_lo, exec_lo, s0
	s_waitcnt lgkmcnt(5)
	v_mul_f32_e32 v74, v158, v3
	v_mul_f32_e32 v75, v158, v2
	s_waitcnt lgkmcnt(4)
	v_mul_f32_e32 v76, v160, v25
	s_waitcnt lgkmcnt(2)
	;; [unrolled: 2-line block ×3, first 2 shown]
	v_mul_f32_e32 v78, v148, v19
	v_fmac_f32_e32 v74, v157, v2
	v_mul_f32_e32 v2, v160, v24
	v_fma_f32 v3, v157, v3, -v75
	v_fmac_f32_e32 v76, v159, v24
	v_mul_f32_e32 v24, v156, v27
	v_mul_f32_e32 v75, v156, v26
	v_fma_f32 v25, v159, v25, -v2
	v_mul_f32_e32 v2, v154, v20
	v_fmac_f32_e32 v77, v153, v20
	v_mul_f32_e32 v20, v150, v16
	v_fmac_f32_e32 v24, v155, v26
	v_fma_f32 v26, v155, v27, -v75
	v_mul_f32_e32 v27, v152, v23
	v_fma_f32 v21, v153, v21, -v2
	v_mul_f32_e32 v2, v152, v22
	v_mul_f32_e32 v75, v150, v17
	v_fma_f32 v79, v149, v17, -v20
	v_mul_f32_e32 v17, v148, v18
	v_fmac_f32_e32 v27, v151, v22
	v_fma_f32 v23, v151, v23, -v2
	v_fmac_f32_e32 v75, v149, v16
	v_fmac_f32_e32 v78, v147, v18
	v_sub_f32_e32 v2, v8, v74
	v_sub_f32_e32 v3, v9, v3
	v_fma_f32 v74, v147, v19, -v17
	v_sub_f32_e32 v16, v10, v76
	v_sub_f32_e32 v17, v11, v25
	;; [unrolled: 1-line block ×8, first 2 shown]
	v_add_nc_u32_e32 v73, 0x220, v167
	v_add_nc_u32_e32 v72, 0x440, v167
	v_fma_f32 v8, v8, 2.0, -v2
	v_fma_f32 v9, v9, 2.0, -v3
	v_sub_f32_e32 v24, v6, v75
	v_sub_f32_e32 v25, v7, v79
	;; [unrolled: 1-line block ×4, first 2 shown]
	v_fma_f32 v10, v10, 2.0, -v16
	v_fma_f32 v11, v11, 2.0, -v17
	v_fma_f32 v12, v12, 2.0, -v18
	v_fma_f32 v13, v13, 2.0, -v19
	v_fma_f32 v14, v14, 2.0, -v20
	v_fma_f32 v15, v15, 2.0, -v21
	v_fma_f32 v4, v4, 2.0, -v22
	v_fma_f32 v5, v5, 2.0, -v23
	v_fma_f32 v6, v6, 2.0, -v24
	v_fma_f32 v7, v7, 2.0, -v25
	v_fma_f32 v0, v0, 2.0, -v26
	v_fma_f32 v1, v1, 2.0, -v27
	s_barrier
	buffer_gl0_inv
	ds_write2_b64 v180, v[8:9], v[2:3] offset1:34
	ds_write2_b64 v186, v[10:11], v[16:17] offset1:34
	;; [unrolled: 1-line block ×7, first 2 shown]
	s_and_saveexec_b32 s0, vcc_lo
	s_cbranch_execz .LBB0_29
; %bb.28:
	v_mul_f32_e32 v0, v146, v30
	v_mul_f32_e32 v2, v146, v31
	v_lshl_add_u32 v4, v179, 3, v169
	v_fma_f32 v0, v145, v31, -v0
	v_fmac_f32_e32 v2, v145, v30
	v_add_nc_u32_e32 v4, 0x1800, v4
	v_sub_f32_e32 v1, v29, v0
	v_sub_f32_e32 v0, v28, v2
	v_fma_f32 v3, v29, 2.0, -v1
	v_fma_f32 v2, v28, 2.0, -v0
	ds_write2_b64 v4, v[2:3], v[0:1] offset0:184 offset1:218
.LBB0_29:
	s_or_b32 exec_lo, exec_lo, s0
	v_add_nc_u32_e32 v1, 0x800, v167
	v_add_nc_u32_e32 v2, 0x1000, v167
	s_waitcnt lgkmcnt(0)
	s_barrier
	buffer_gl0_inv
	ds_read2_b64 v[3:6], v1 offset0:16 offset1:84
	ds_read2_b64 v[7:10], v2 offset0:168 offset1:236
	;; [unrolled: 1-line block ×3, first 2 shown]
	v_add_nc_u32_e32 v0, 0x1800, v167
	ds_read2_b64 v[15:18], v167 offset1:68
	ds_read2_b64 v[19:22], v167 offset0:136 offset1:204
	ds_read_b64 v[74:75], v167 offset:7616
	ds_read2_b64 v[23:26], v0 offset0:48 offset1:116
	ds_read2_b64 v[27:30], v2 offset0:32 offset1:100
	s_waitcnt lgkmcnt(0)
	s_barrier
	buffer_gl0_inv
	s_mov_b32 s2, 0x10101010
	s_mov_b32 s3, 0x3f501010
	s_mul_hi_u32 s1, s8, 0x1fe
	v_mul_f32_e32 v31, v33, v6
	v_mul_f32_e32 v76, v33, v5
	;; [unrolled: 1-line block ×8, first 2 shown]
	v_fmac_f32_e32 v31, v32, v5
	v_fma_f32 v6, v32, v6, -v76
	v_fmac_f32_e32 v77, v34, v7
	v_fmac_f32_e32 v79, v32, v11
	v_fma_f32 v12, v32, v12, -v33
	v_fma_f32 v32, v34, v10, -v35
	v_mul_f32_e32 v5, v47, v23
	v_mul_f32_e32 v35, v41, v28
	;; [unrolled: 1-line block ×3, first 2 shown]
	v_fma_f32 v8, v34, v8, -v78
	v_mul_f32_e32 v33, v47, v24
	v_fma_f32 v24, v46, v24, -v5
	v_fmac_f32_e32 v35, v40, v27
	v_mul_f32_e32 v5, v43, v25
	v_fma_f32 v27, v40, v28, -v7
	v_mul_f32_e32 v40, v37, v30
	v_mul_f32_e32 v7, v37, v29
	;; [unrolled: 1-line block ×5, first 2 shown]
	v_fma_f32 v26, v42, v26, -v5
	v_fmac_f32_e32 v40, v36, v29
	v_mul_f32_e32 v5, v39, v74
	v_fma_f32 v29, v36, v30, -v7
	v_add_f32_e32 v7, v31, v77
	v_add_f32_e32 v10, v6, v8
	v_fmac_f32_e32 v80, v34, v9
	v_fmac_f32_e32 v81, v44, v13
	v_fma_f32 v34, v44, v14, -v45
	v_add_f32_e32 v9, v15, v31
	v_fma_f32 v30, v38, v75, -v5
	v_fma_f32 v5, -0.5, v7, v15
	v_sub_f32_e32 v11, v6, v8
	v_add_f32_e32 v13, v16, v6
	v_fma_f32 v6, -0.5, v10, v16
	v_sub_f32_e32 v14, v31, v77
	v_add_f32_e32 v7, v9, v77
	v_fmamk_f32 v9, v11, 0xbf5db3d7, v5
	v_fmac_f32_e32 v5, 0x3f5db3d7, v11
	v_add_f32_e32 v11, v79, v80
	v_fmamk_f32 v10, v14, 0x3f5db3d7, v6
	v_fmac_f32_e32 v6, 0xbf5db3d7, v14
	v_add_f32_e32 v14, v12, v32
	v_fmac_f32_e32 v33, v46, v23
	v_add_f32_e32 v8, v13, v8
	v_add_f32_e32 v13, v17, v79
	v_fma_f32 v17, -0.5, v11, v17
	v_sub_f32_e32 v15, v12, v32
	v_add_f32_e32 v12, v18, v12
	v_fmac_f32_e32 v18, -0.5, v14
	v_sub_f32_e32 v16, v79, v80
	v_add_f32_e32 v11, v13, v80
	v_fmamk_f32 v13, v15, 0xbf5db3d7, v17
	v_fmac_f32_e32 v17, 0x3f5db3d7, v15
	v_add_f32_e32 v15, v81, v33
	v_fmamk_f32 v14, v16, 0x3f5db3d7, v18
	v_fmac_f32_e32 v18, 0xbf5db3d7, v16
	v_add_f32_e32 v16, v34, v24
	v_fmac_f32_e32 v41, v42, v25
	v_add_f32_e32 v23, v19, v81
	v_fma_f32 v15, -0.5, v15, v19
	v_sub_f32_e32 v25, v34, v24
	v_add_f32_e32 v28, v20, v34
	v_fma_f32 v16, -0.5, v16, v20
	v_sub_f32_e32 v31, v81, v33
	v_mul_f32_e32 v37, v39, v75
	v_add_f32_e32 v19, v23, v33
	v_fmamk_f32 v23, v25, 0xbf5db3d7, v15
	v_fmac_f32_e32 v15, 0x3f5db3d7, v25
	v_add_f32_e32 v20, v28, v24
	v_add_f32_e32 v25, v35, v41
	v_fmamk_f32 v24, v31, 0x3f5db3d7, v16
	v_add_f32_e32 v28, v21, v35
	v_fmac_f32_e32 v16, 0xbf5db3d7, v31
	v_add_f32_e32 v31, v27, v26
	v_fmac_f32_e32 v37, v38, v74
	v_add_f32_e32 v12, v12, v32
	v_fma_f32 v21, -0.5, v25, v21
	v_sub_f32_e32 v32, v27, v26
	v_add_f32_e32 v25, v28, v41
	v_add_f32_e32 v28, v22, v27
	v_fmac_f32_e32 v22, -0.5, v31
	v_sub_f32_e32 v31, v35, v41
	v_fmamk_f32 v27, v32, 0xbf5db3d7, v21
	v_fmac_f32_e32 v21, 0x3f5db3d7, v32
	v_add_f32_e32 v26, v28, v26
	v_add_f32_e32 v32, v40, v37
	v_fmamk_f32 v28, v31, 0x3f5db3d7, v22
	v_fmac_f32_e32 v22, 0xbf5db3d7, v31
	v_add_f32_e32 v31, v29, v30
	v_add_f32_e32 v33, v3, v40
	v_fma_f32 v3, -0.5, v32, v3
	v_sub_f32_e32 v32, v29, v30
	v_add_f32_e32 v34, v4, v29
	v_fmac_f32_e32 v4, -0.5, v31
	v_sub_f32_e32 v35, v40, v37
	ds_write2_b64 v167, v[7:8], v[9:10] offset1:68
	v_add_nc_u32_e32 v7, 0x800, v190
	ds_write2_b64 v167, v[5:6], v[11:12] offset0:136 offset1:204
	v_add_nc_u32_e32 v5, 0x1000, v189
	v_add_f32_e32 v29, v33, v37
	v_fmamk_f32 v31, v32, 0xbf5db3d7, v3
	v_fmac_f32_e32 v3, 0x3f5db3d7, v32
	v_add_f32_e32 v30, v34, v30
	v_fmamk_f32 v32, v35, 0x3f5db3d7, v4
	v_fmac_f32_e32 v4, 0xbf5db3d7, v35
	v_add_nc_u32_e32 v6, 0x1800, v188
	ds_write2_b64 v1, v[13:14], v[17:18] offset0:16 offset1:84
	ds_write2_b64 v7, v[19:20], v[23:24] offset0:152 offset1:220
	ds_write_b64 v190, v[15:16] offset:4352
	ds_write2_b64 v5, v[25:26], v[27:28] offset0:100 offset1:168
	ds_write_b64 v189, v[21:22] offset:5984
	;; [unrolled: 2-line block ×3, first 2 shown]
	s_waitcnt lgkmcnt(0)
	s_barrier
	buffer_gl0_inv
	ds_read2_b64 v[3:6], v167 offset0:136 offset1:204
	ds_read2_b64 v[7:10], v1 offset0:152 offset1:220
	;; [unrolled: 1-line block ×5, first 2 shown]
	ds_read2_b64 v[23:26], v167 offset1:68
	ds_read2_b64 v[27:30], v2 offset0:168 offset1:236
	ds_read_b64 v[31:32], v167 offset:7616
	s_waitcnt lgkmcnt(7)
	v_mul_f32_e32 v34, v65, v5
	s_waitcnt lgkmcnt(6)
	v_mul_f32_e32 v36, v67, v7
	v_mul_f32_e32 v33, v65, v6
	;; [unrolled: 1-line block ×3, first 2 shown]
	s_waitcnt lgkmcnt(5)
	v_mul_f32_e32 v37, v69, v14
	v_fma_f32 v34, v64, v6, -v34
	v_fma_f32 v36, v66, v8, -v36
	s_waitcnt lgkmcnt(4)
	v_mul_f32_e32 v8, v71, v16
	v_mul_f32_e32 v6, v71, v15
	v_fmac_f32_e32 v33, v64, v5
	v_fmac_f32_e32 v35, v66, v7
	v_mul_f32_e32 v5, v69, v13
	s_waitcnt lgkmcnt(3)
	v_mul_f32_e32 v7, v53, v19
	v_fmac_f32_e32 v8, v70, v15
	v_fma_f32 v15, v70, v16, -v6
	s_waitcnt lgkmcnt(1)
	v_mul_f32_e32 v41, v61, v28
	v_mul_f32_e32 v6, v61, v27
	;; [unrolled: 1-line block ×3, first 2 shown]
	v_fma_f32 v39, v68, v14, -v5
	v_fma_f32 v40, v52, v20, -v7
	v_mul_f32_e32 v5, v55, v9
	v_fmac_f32_e32 v41, v60, v27
	v_fma_f32 v27, v60, v28, -v6
	v_mul_f32_e32 v6, v57, v21
	v_mul_f32_e32 v7, v59, v11
	v_fmac_f32_e32 v37, v68, v13
	v_fmac_f32_e32 v38, v52, v19
	v_mul_f32_e32 v20, v55, v10
	v_fma_f32 v43, v54, v10, -v5
	v_mul_f32_e32 v5, v63, v17
	v_mul_f32_e32 v44, v59, v12
	v_fma_f32 v46, v56, v22, -v6
	v_fma_f32 v47, v58, v12, -v7
	v_mul_f32_e32 v52, v49, v30
	v_mul_f32_e32 v6, v49, v29
	v_add_f32_e32 v7, v23, v33
	v_fmac_f32_e32 v20, v54, v9
	v_fma_f32 v45, v62, v18, -v5
	v_fmac_f32_e32 v44, v58, v11
	v_add_f32_e32 v5, v35, v37
	v_fmac_f32_e32 v52, v48, v29
	v_fma_f32 v48, v48, v30, -v6
	v_add_f32_e32 v6, v7, v35
	v_sub_f32_e32 v9, v33, v35
	v_sub_f32_e32 v11, v8, v37
	v_add_f32_e32 v13, v33, v8
	v_mul_f32_e32 v42, v63, v18
	s_waitcnt lgkmcnt(0)
	v_mul_f32_e32 v49, v51, v32
	v_fma_f32 v5, -0.5, v5, v23
	v_sub_f32_e32 v10, v34, v15
	v_sub_f32_e32 v12, v36, v39
	v_mul_f32_e32 v14, v51, v31
	v_add_f32_e32 v6, v6, v37
	v_add_f32_e32 v16, v9, v11
	v_fma_f32 v9, -0.5, v13, v23
	v_fmac_f32_e32 v42, v62, v17
	v_fmac_f32_e32 v49, v50, v31
	v_fmamk_f32 v7, v10, 0xbf737871, v5
	v_fma_f32 v50, v50, v32, -v14
	v_add_f32_e32 v11, v6, v8
	v_fmac_f32_e32 v5, 0x3f737871, v10
	v_fmamk_f32 v13, v12, 0x3f737871, v9
	v_sub_f32_e32 v6, v35, v33
	v_sub_f32_e32 v14, v37, v8
	v_add_f32_e32 v17, v24, v34
	v_add_f32_e32 v18, v36, v39
	v_fmac_f32_e32 v9, 0xbf737871, v12
	v_fmac_f32_e32 v7, 0xbf167918, v12
	;; [unrolled: 1-line block ×4, first 2 shown]
	v_add_f32_e32 v14, v6, v14
	v_add_f32_e32 v12, v17, v36
	v_fma_f32 v6, -0.5, v18, v24
	v_sub_f32_e32 v18, v33, v8
	v_fmac_f32_e32 v9, 0x3f167918, v10
	v_add_f32_e32 v10, v34, v15
	v_mul_f32_e32 v28, v57, v22
	v_fmac_f32_e32 v7, 0x3e9e377a, v16
	v_fmac_f32_e32 v5, 0x3e9e377a, v16
	v_add_f32_e32 v12, v12, v39
	v_fmamk_f32 v8, v18, 0x3f737871, v6
	v_sub_f32_e32 v16, v35, v37
	v_sub_f32_e32 v17, v34, v36
	;; [unrolled: 1-line block ×3, first 2 shown]
	v_fma_f32 v10, -0.5, v10, v24
	v_fmac_f32_e32 v6, 0xbf737871, v18
	v_add_f32_e32 v22, v25, v38
	v_fmac_f32_e32 v28, v56, v21
	v_fmac_f32_e32 v13, 0x3e9e377a, v14
	;; [unrolled: 1-line block ×3, first 2 shown]
	v_add_f32_e32 v12, v12, v15
	v_fmac_f32_e32 v8, 0x3f167918, v16
	v_add_f32_e32 v17, v17, v19
	v_fmamk_f32 v14, v16, 0xbf737871, v10
	v_sub_f32_e32 v19, v36, v34
	v_sub_f32_e32 v15, v39, v15
	v_add_f32_e32 v21, v20, v41
	v_fmac_f32_e32 v6, 0xbf167918, v16
	v_fmac_f32_e32 v10, 0x3f737871, v16
	v_add_f32_e32 v16, v22, v20
	v_add_f32_e32 v29, v38, v42
	v_fmac_f32_e32 v14, 0x3f167918, v18
	v_add_f32_e32 v19, v19, v15
	v_fma_f32 v15, -0.5, v21, v25
	v_sub_f32_e32 v23, v40, v45
	v_sub_f32_e32 v22, v43, v27
	;; [unrolled: 1-line block ×4, first 2 shown]
	v_fmac_f32_e32 v10, 0xbf167918, v18
	v_add_f32_e32 v16, v16, v41
	v_fma_f32 v25, -0.5, v29, v25
	v_fmac_f32_e32 v8, 0x3e9e377a, v17
	v_fmac_f32_e32 v6, 0x3e9e377a, v17
	;; [unrolled: 1-line block ×3, first 2 shown]
	v_fmamk_f32 v17, v23, 0xbf737871, v15
	v_add_f32_e32 v18, v21, v24
	v_fmac_f32_e32 v10, 0x3e9e377a, v19
	v_add_f32_e32 v19, v16, v42
	v_fmac_f32_e32 v15, 0x3f737871, v23
	v_fmamk_f32 v21, v22, 0x3f737871, v25
	v_sub_f32_e32 v16, v20, v38
	v_sub_f32_e32 v24, v41, v42
	v_add_f32_e32 v29, v26, v40
	v_add_f32_e32 v30, v43, v27
	v_fmac_f32_e32 v25, 0xbf737871, v22
	v_fmac_f32_e32 v17, 0xbf167918, v22
	;; [unrolled: 1-line block ×4, first 2 shown]
	v_add_f32_e32 v24, v16, v24
	v_add_f32_e32 v22, v29, v43
	v_fma_f32 v16, -0.5, v30, v26
	v_sub_f32_e32 v29, v38, v42
	v_fmac_f32_e32 v25, 0x3f167918, v23
	v_add_f32_e32 v23, v40, v45
	v_fmac_f32_e32 v17, 0x3e9e377a, v18
	v_fmac_f32_e32 v15, 0x3e9e377a, v18
	v_add_f32_e32 v22, v22, v27
	v_fmamk_f32 v18, v29, 0x3f737871, v16
	v_sub_f32_e32 v30, v20, v41
	v_sub_f32_e32 v31, v40, v43
	;; [unrolled: 1-line block ×3, first 2 shown]
	v_fmac_f32_e32 v26, -0.5, v23
	v_fmac_f32_e32 v16, 0xbf737871, v29
	v_sub_f32_e32 v23, v43, v40
	v_sub_f32_e32 v27, v27, v45
	v_fmac_f32_e32 v21, 0x3e9e377a, v24
	v_fmac_f32_e32 v25, 0x3e9e377a, v24
	;; [unrolled: 1-line block ×3, first 2 shown]
	v_add_f32_e32 v24, v31, v32
	v_fmac_f32_e32 v16, 0xbf167918, v30
	v_add_f32_e32 v31, v44, v52
	v_add_f32_e32 v32, v23, v27
	;; [unrolled: 1-line block ×4, first 2 shown]
	v_fmamk_f32 v22, v30, 0xbf737871, v26
	v_fmac_f32_e32 v18, 0x3e9e377a, v24
	v_fmac_f32_e32 v26, 0x3f737871, v30
	v_fma_f32 v23, -0.5, v31, v3
	v_sub_f32_e32 v30, v46, v50
	v_fmac_f32_e32 v16, 0x3e9e377a, v24
	v_add_f32_e32 v24, v27, v44
	v_fmac_f32_e32 v22, 0x3f167918, v29
	v_fmac_f32_e32 v26, 0xbf167918, v29
	v_fmamk_f32 v27, v30, 0xbf737871, v23
	v_sub_f32_e32 v33, v47, v48
	v_sub_f32_e32 v29, v28, v44
	;; [unrolled: 1-line block ×3, first 2 shown]
	v_fmac_f32_e32 v23, 0x3f737871, v30
	v_add_f32_e32 v34, v28, v49
	v_add_f32_e32 v24, v24, v52
	v_fmac_f32_e32 v27, 0xbf167918, v33
	v_add_f32_e32 v31, v29, v31
	v_fmac_f32_e32 v23, 0x3f167918, v33
	v_fma_f32 v3, -0.5, v34, v3
	v_add_f32_e32 v29, v24, v49
	v_add_f32_e32 v24, v4, v46
	v_fmac_f32_e32 v27, 0x3e9e377a, v31
	v_fmac_f32_e32 v23, 0x3e9e377a, v31
	v_fmamk_f32 v31, v33, 0x3f737871, v3
	v_fmac_f32_e32 v3, 0xbf737871, v33
	v_add_f32_e32 v33, v24, v47
	v_fmac_f32_e32 v22, 0x3e9e377a, v32
	v_fmac_f32_e32 v26, 0x3e9e377a, v32
	v_add_f32_e32 v32, v47, v48
	v_sub_f32_e32 v34, v44, v28
	v_sub_f32_e32 v35, v52, v49
	v_fmac_f32_e32 v31, 0xbf167918, v30
	v_fmac_f32_e32 v3, 0x3f167918, v30
	v_add_f32_e32 v30, v33, v48
	v_add_f32_e32 v33, v46, v50
	v_fma_f32 v24, -0.5, v32, v4
	v_sub_f32_e32 v36, v28, v49
	v_add_f32_e32 v32, v34, v35
	v_sub_f32_e32 v34, v44, v52
	v_fmac_f32_e32 v4, -0.5, v33
	v_sub_f32_e32 v33, v46, v47
	v_fmamk_f32 v28, v36, 0x3f737871, v24
	v_sub_f32_e32 v35, v50, v48
	v_fmac_f32_e32 v24, 0xbf737871, v36
	v_fmac_f32_e32 v31, 0x3e9e377a, v32
	;; [unrolled: 1-line block ×3, first 2 shown]
	v_fmamk_f32 v32, v34, 0xbf737871, v4
	v_sub_f32_e32 v37, v47, v46
	v_sub_f32_e32 v38, v48, v50
	v_fmac_f32_e32 v4, 0x3f737871, v34
	v_fmac_f32_e32 v28, 0x3f167918, v34
	v_add_f32_e32 v33, v33, v35
	v_fmac_f32_e32 v24, 0xbf167918, v34
	v_fmac_f32_e32 v32, 0x3f167918, v36
	v_add_f32_e32 v34, v37, v38
	v_fmac_f32_e32 v4, 0xbf167918, v36
	v_fmac_f32_e32 v28, 0x3e9e377a, v33
	;; [unrolled: 1-line block ×3, first 2 shown]
	v_add_nc_u32_e32 v33, 0x600, v167
	v_fmac_f32_e32 v32, 0x3e9e377a, v34
	v_fmac_f32_e32 v4, 0x3e9e377a, v34
	v_add_nc_u32_e32 v34, 0x1200, v187
	ds_write_b64 v167, v[11:12]
	ds_write2_b64 v33, v[7:8], v[13:14] offset0:12 offset1:216
	v_add_nc_u32_e32 v7, 0x600, v73
	v_add_nc_u32_e32 v8, 0x1200, v73
	v_add_f32_e32 v30, v30, v50
	ds_write2_b64 v34, v[9:10], v[5:6] offset0:36 offset1:240
	v_add_nc_u32_e32 v5, 0x600, v72
	v_add_nc_u32_e32 v6, 0x1200, v72
	ds_write2_b64 v7, v[17:18], v[21:22] offset0:12 offset1:216
	ds_write2_b64 v8, v[25:26], v[15:16] offset0:36 offset1:240
	;; [unrolled: 1-line block ×5, first 2 shown]
	s_waitcnt lgkmcnt(0)
	s_barrier
	buffer_gl0_inv
	ds_read2_b64 v[3:6], v167 offset1:68
	v_mad_u64_u32 v[13:14], null, s10, v122, 0
	s_waitcnt lgkmcnt(0)
	v_mul_f32_e32 v11, v140, v4
	v_mul_f32_e32 v7, v140, v3
	v_fmac_f32_e32 v11, v139, v3
	v_fma_f32 v12, v139, v4, -v7
	ds_read2_b64 v[7:10], v1 offset0:152 offset1:254
	v_cvt_f64_f32_e32 v[3:4], v11
	v_cvt_f64_f32_e32 v[11:12], v12
	s_waitcnt lgkmcnt(0)
	v_mul_f32_e32 v19, v144, v10
	v_mul_f32_e32 v17, v144, v9
	;; [unrolled: 1-line block ×3, first 2 shown]
	v_fmac_f32_e32 v19, v143, v9
	v_mul_f64 v[15:16], v[11:12], s[2:3]
	v_mul_f64 v[3:4], v[3:4], s[2:3]
	v_fma_f32 v9, v143, v10, -v17
	v_mad_u64_u32 v[17:18], null, s8, v168, 0
	v_cvt_f64_f32_e32 v[19:20], v19
	v_fma_f32 v37, v127, v8, -v37
	v_cvt_f64_f32_e32 v[21:22], v9
	ds_read2_b64 v[9:12], v2 offset0:66 offset1:134
	v_mad_u64_u32 v[23:24], null, s11, v122, v[14:15]
	v_cvt_f32_f64_e32 v26, v[15:16]
	v_mad_u64_u32 v[24:25], null, s9, v168, v[18:19]
	v_cvt_f32_f64_e32 v25, v[3:4]
	v_mov_b32_e32 v14, v23
	v_mul_f32_e32 v4, v136, v6
	v_mul_f64 v[15:16], v[21:22], s[2:3]
	s_waitcnt lgkmcnt(0)
	v_mul_f32_e32 v23, v142, v10
	v_mul_f32_e32 v29, v138, v12
	v_lshlrev_b64 v[2:3], 3, v[13:14]
	v_fmac_f32_e32 v4, v135, v5
	v_mul_f32_e32 v5, v136, v5
	v_mul_f64 v[13:14], v[19:20], s[2:3]
	v_mov_b32_e32 v18, v24
	v_fmac_f32_e32 v23, v141, v9
	v_add_co_u32 v27, s0, s6, v2
	v_fma_f32 v2, v135, v6, -v5
	v_mul_f32_e32 v6, v142, v9
	v_add_co_ci_u32_e64 v28, s0, s7, v3, s0
	v_cvt_f64_f32_e32 v[19:20], v4
	v_lshlrev_b64 v[17:18], 3, v[17:18]
	v_cvt_f64_f32_e32 v[21:22], v2
	ds_read2_b64 v[2:5], v167 offset0:136 offset1:204
	v_fma_f32 v6, v141, v10, -v6
	v_cvt_f64_f32_e32 v[23:24], v23
	v_fmac_f32_e32 v29, v137, v11
	v_add_co_u32 v9, s0, v27, v17
	v_add_co_ci_u32_e64 v10, s0, v28, v18, s0
	v_cvt_f64_f32_e32 v[17:18], v6
	s_mul_i32 s0, s9, 0x1fe
	v_cvt_f32_f64_e32 v13, v[13:14]
	v_cvt_f32_f64_e32 v14, v[15:16]
	s_add_i32 s1, s1, s0
	s_mul_i32 s0, s8, 0x1fe
	v_mul_f32_e32 v11, v138, v11
	s_lshl_b64 s[4:5], s[0:1], 3
	v_cvt_f64_f32_e32 v[29:30], v29
	v_add_co_u32 v15, s0, v9, s4
	v_mul_f64 v[19:20], v[19:20], s[2:3]
	s_waitcnt lgkmcnt(0)
	v_mul_f32_e32 v6, v134, v3
	v_mul_f64 v[21:22], v[21:22], s[2:3]
	v_mul_f32_e32 v27, v134, v2
	v_add_co_ci_u32_e64 v16, s0, s5, v10, s0
	v_fmac_f32_e32 v6, v133, v2
	v_mul_f64 v[23:24], v[23:24], s[2:3]
	v_fma_f32 v27, v133, v3, -v27
	global_store_dwordx2 v[9:10], v[25:26], off
	global_store_dwordx2 v[15:16], v[13:14], off
	v_mul_f64 v[2:3], v[17:18], s[2:3]
	v_cvt_f64_f32_e32 v[17:18], v6
	v_fma_f32 v6, v137, v12, -v11
	v_add_nc_u32_e32 v11, 0x1400, v167
	v_cvt_f64_f32_e32 v[27:28], v27
	s_mul_hi_u32 s0, s8, 0xfffffe46
	s_mul_i32 s1, s9, 0xfffffe46
	v_cvt_f64_f32_e32 v[13:14], v6
	ds_read2_b64 v[9:12], v11 offset0:74 offset1:142
	v_cvt_f32_f64_e32 v19, v[19:20]
	v_cvt_f32_f64_e32 v20, v[21:22]
	s_sub_i32 s0, s0, s8
	v_mul_f32_e32 v6, v126, v5
	s_add_i32 s1, s0, s1
	s_mul_i32 s0, s8, 0xfffffe46
	v_cvt_f32_f64_e32 v21, v[23:24]
	s_lshl_b64 s[6:7], s[0:1], 3
	v_fmac_f32_e32 v6, v125, v4
	v_add_co_u32 v15, s0, v15, s6
	v_add_co_ci_u32_e64 v16, s0, s7, v16, s0
	v_cvt_f32_f64_e32 v22, v[2:3]
	v_mul_f32_e32 v2, v126, v4
	v_mul_f64 v[25:26], v[29:30], s[2:3]
	v_cvt_f64_f32_e32 v[29:30], v6
	v_mul_f64 v[23:24], v[27:28], s[2:3]
	v_mul_f64 v[17:18], v[17:18], s[2:3]
	s_waitcnt lgkmcnt(0)
	v_mul_f32_e32 v31, v132, v10
	v_mul_f64 v[27:28], v[13:14], s[2:3]
	v_mul_f32_e32 v13, v132, v9
	v_fma_f32 v14, v125, v5, -v2
	ds_read2_b64 v[1:4], v1 offset0:16 offset1:84
	v_fmac_f32_e32 v31, v131, v9
	global_store_dwordx2 v[15:16], v[19:20], off
	v_fma_f32 v13, v131, v10, -v13
	v_cvt_f64_f32_e32 v[9:10], v14
	v_add_co_u32 v5, s0, v15, s4
	v_cvt_f64_f32_e32 v[19:20], v31
	v_cvt_f64_f32_e32 v[31:32], v13
	v_add_co_ci_u32_e64 v6, s0, s5, v16, s0
	ds_read2_b64 v[13:16], v0 offset0:82 offset1:150
	global_store_dwordx2 v[5:6], v[21:22], off
	v_cvt_f32_f64_e32 v21, v[25:26]
	v_mul_f64 v[25:26], v[29:30], s[2:3]
	v_cvt_f32_f64_e32 v17, v[17:18]
	v_cvt_f32_f64_e32 v18, v[23:24]
	;; [unrolled: 1-line block ×3, first 2 shown]
	s_waitcnt lgkmcnt(1)
	v_mul_f32_e32 v0, v119, v1
	v_mul_f32_e32 v27, v119, v2
	;; [unrolled: 1-line block ×3, first 2 shown]
	v_add_co_u32 v5, s0, v5, s6
	v_fma_f32 v2, v118, v2, -v0
	v_fmac_f32_e32 v27, v118, v1
	v_mul_f64 v[0:1], v[9:10], s[2:3]
	v_add_co_ci_u32_e64 v6, s0, s7, v6, s0
	v_mul_f64 v[9:10], v[19:20], s[2:3]
	v_mul_f64 v[19:20], v[31:32], s[2:3]
	v_cvt_f64_f32_e32 v[29:30], v2
	v_mul_f32_e32 v2, v124, v12
	v_mul_f32_e32 v31, v124, v11
	;; [unrolled: 1-line block ×3, first 2 shown]
	v_fma_f32 v4, v120, v4, -v33
	s_waitcnt lgkmcnt(0)
	v_mul_f32_e32 v35, v117, v14
	v_cvt_f64_f32_e32 v[27:28], v27
	v_fmac_f32_e32 v2, v123, v11
	v_fma_f32 v11, v123, v12, -v31
	v_cvt_f64_f32_e32 v[33:34], v4
	v_mul_f32_e32 v4, v117, v13
	v_fmac_f32_e32 v35, v116, v13
	v_mul_f32_e32 v13, v128, v8
	v_mul_f32_e32 v38, v130, v16
	;; [unrolled: 1-line block ×3, first 2 shown]
	v_fmac_f32_e32 v32, v120, v3
	v_cvt_f64_f32_e32 v[2:3], v2
	v_cvt_f64_f32_e32 v[11:12], v11
	v_fma_f32 v4, v116, v14, -v4
	v_fmac_f32_e32 v13, v127, v7
	v_fmac_f32_e32 v38, v129, v15
	v_fma_f32 v39, v129, v16, -v39
	v_cvt_f64_f32_e32 v[31:32], v32
	v_cvt_f64_f32_e32 v[7:8], v4
	;; [unrolled: 1-line block ×7, first 2 shown]
	v_add_co_u32 v23, s0, v5, s4
	v_add_co_ci_u32_e64 v24, s0, s5, v6, s0
	global_store_dwordx2 v[5:6], v[17:18], off
	global_store_dwordx2 v[23:24], v[21:22], off
	v_cvt_f32_f64_e32 v5, v[0:1]
	v_mul_f64 v[0:1], v[27:28], s[2:3]
	v_mul_f64 v[17:18], v[29:30], s[2:3]
	;; [unrolled: 1-line block ×4, first 2 shown]
	v_add_co_u32 v21, s0, v23, s6
	v_add_co_ci_u32_e64 v22, s0, s7, v24, s0
	v_cvt_f32_f64_e32 v9, v[9:10]
	v_cvt_f32_f64_e32 v10, v[19:20]
	v_mul_f64 v[19:20], v[31:32], s[2:3]
	v_mul_f64 v[23:24], v[33:34], s[2:3]
	;; [unrolled: 1-line block ×4, first 2 shown]
	v_cvt_f32_f64_e32 v4, v[25:26]
	v_mul_f64 v[25:26], v[35:36], s[2:3]
	v_mul_f64 v[13:14], v[13:14], s[2:3]
	;; [unrolled: 1-line block ×4, first 2 shown]
	v_add_co_u32 v31, s0, v21, s4
	v_add_co_ci_u32_e64 v32, s0, s5, v22, s0
	v_cvt_f32_f64_e32 v0, v[0:1]
	v_cvt_f32_f64_e32 v1, v[17:18]
	v_add_co_u32 v17, s0, v31, s6
	v_add_co_ci_u32_e64 v18, s0, s7, v32, s0
	v_cvt_f32_f64_e32 v2, v[2:3]
	v_cvt_f32_f64_e32 v3, v[11:12]
	;; [unrolled: 4-line block ×3, first 2 shown]
	v_cvt_f32_f64_e32 v24, v[6:7]
	v_cvt_f32_f64_e32 v7, v[15:16]
	v_add_co_u32 v15, s0, v11, s6
	v_cvt_f32_f64_e32 v23, v[25:26]
	v_add_co_ci_u32_e64 v16, s0, s7, v12, s0
	v_cvt_f32_f64_e32 v6, v[13:14]
	v_cvt_f32_f64_e32 v13, v[27:28]
	;; [unrolled: 1-line block ×3, first 2 shown]
	global_store_dwordx2 v[21:22], v[4:5], off
	v_add_co_u32 v4, s0, v15, s4
	v_add_co_ci_u32_e64 v5, s0, s5, v16, s0
	global_store_dwordx2 v[31:32], v[9:10], off
	v_add_co_u32 v8, s0, v4, s6
	v_add_co_ci_u32_e64 v9, s0, s7, v5, s0
	;; [unrolled: 3-line block ×3, first 2 shown]
	global_store_dwordx2 v[11:12], v[2:3], off
	global_store_dwordx2 v[15:16], v[19:20], off
	;; [unrolled: 1-line block ×5, first 2 shown]
	s_and_b32 exec_lo, exec_lo, vcc_lo
	s_cbranch_execz .LBB0_31
; %bb.30:
	s_clause 0x1
	buffer_load_dword v2, off, s[16:19], 0 offset:8
	buffer_load_dword v3, off, s[16:19], 0 offset:12
	v_add_co_u32 v0, vcc_lo, v0, s6
	v_add_co_ci_u32_e32 v1, vcc_lo, s7, v1, vcc_lo
	s_waitcnt vmcnt(0)
	global_load_dwordx2 v[2:3], v[2:3], off offset:1760
	ds_read_b64 v[4:5], v167 offset:3808
	ds_read_b64 v[6:7], v167 offset:7888
	s_waitcnt vmcnt(0) lgkmcnt(1)
	v_mul_f32_e32 v8, v5, v3
	v_mul_f32_e32 v3, v4, v3
	v_fmac_f32_e32 v8, v4, v2
	v_fma_f32 v4, v2, v5, -v3
	v_cvt_f64_f32_e32 v[2:3], v8
	v_cvt_f64_f32_e32 v[4:5], v4
	v_mul_f64 v[2:3], v[2:3], s[2:3]
	v_mul_f64 v[4:5], v[4:5], s[2:3]
	v_cvt_f32_f64_e32 v2, v[2:3]
	v_cvt_f32_f64_e32 v3, v[4:5]
	global_store_dwordx2 v[0:1], v[2:3], off
	s_clause 0x1
	buffer_load_dword v2, off, s[16:19], 0
	buffer_load_dword v3, off, s[16:19], 0 offset:4
	v_add_co_u32 v0, vcc_lo, v0, s4
	v_add_co_ci_u32_e32 v1, vcc_lo, s5, v1, vcc_lo
	s_waitcnt vmcnt(0)
	global_load_dwordx2 v[2:3], v[2:3], off offset:1744
	s_waitcnt vmcnt(0) lgkmcnt(0)
	v_mul_f32_e32 v4, v7, v3
	v_mul_f32_e32 v3, v6, v3
	v_fmac_f32_e32 v4, v6, v2
	v_fma_f32 v5, v2, v7, -v3
	v_cvt_f64_f32_e32 v[2:3], v4
	v_cvt_f64_f32_e32 v[4:5], v5
	v_mul_f64 v[2:3], v[2:3], s[2:3]
	v_mul_f64 v[4:5], v[4:5], s[2:3]
	v_cvt_f32_f64_e32 v2, v[2:3]
	v_cvt_f32_f64_e32 v3, v[4:5]
	global_store_dwordx2 v[0:1], v[2:3], off
.LBB0_31:
	s_endpgm
	.section	.rodata,"a",@progbits
	.p2align	6, 0x0
	.amdhsa_kernel bluestein_single_fwd_len1020_dim1_sp_op_CI_CI
		.amdhsa_group_segment_fixed_size 24480
		.amdhsa_private_segment_fixed_size 52
		.amdhsa_kernarg_size 104
		.amdhsa_user_sgpr_count 6
		.amdhsa_user_sgpr_private_segment_buffer 1
		.amdhsa_user_sgpr_dispatch_ptr 0
		.amdhsa_user_sgpr_queue_ptr 0
		.amdhsa_user_sgpr_kernarg_segment_ptr 1
		.amdhsa_user_sgpr_dispatch_id 0
		.amdhsa_user_sgpr_flat_scratch_init 0
		.amdhsa_user_sgpr_private_segment_size 0
		.amdhsa_wavefront_size32 1
		.amdhsa_uses_dynamic_stack 0
		.amdhsa_system_sgpr_private_segment_wavefront_offset 1
		.amdhsa_system_sgpr_workgroup_id_x 1
		.amdhsa_system_sgpr_workgroup_id_y 0
		.amdhsa_system_sgpr_workgroup_id_z 0
		.amdhsa_system_sgpr_workgroup_info 0
		.amdhsa_system_vgpr_workitem_id 0
		.amdhsa_next_free_vgpr 256
		.amdhsa_next_free_sgpr 20
		.amdhsa_reserve_vcc 1
		.amdhsa_reserve_flat_scratch 0
		.amdhsa_float_round_mode_32 0
		.amdhsa_float_round_mode_16_64 0
		.amdhsa_float_denorm_mode_32 3
		.amdhsa_float_denorm_mode_16_64 3
		.amdhsa_dx10_clamp 1
		.amdhsa_ieee_mode 1
		.amdhsa_fp16_overflow 0
		.amdhsa_workgroup_processor_mode 1
		.amdhsa_memory_ordered 1
		.amdhsa_forward_progress 0
		.amdhsa_shared_vgpr_count 0
		.amdhsa_exception_fp_ieee_invalid_op 0
		.amdhsa_exception_fp_denorm_src 0
		.amdhsa_exception_fp_ieee_div_zero 0
		.amdhsa_exception_fp_ieee_overflow 0
		.amdhsa_exception_fp_ieee_underflow 0
		.amdhsa_exception_fp_ieee_inexact 0
		.amdhsa_exception_int_div_zero 0
	.end_amdhsa_kernel
	.text
.Lfunc_end0:
	.size	bluestein_single_fwd_len1020_dim1_sp_op_CI_CI, .Lfunc_end0-bluestein_single_fwd_len1020_dim1_sp_op_CI_CI
                                        ; -- End function
	.section	.AMDGPU.csdata,"",@progbits
; Kernel info:
; codeLenInByte = 22828
; NumSgprs: 22
; NumVgprs: 256
; ScratchSize: 52
; MemoryBound: 0
; FloatMode: 240
; IeeeMode: 1
; LDSByteSize: 24480 bytes/workgroup (compile time only)
; SGPRBlocks: 2
; VGPRBlocks: 31
; NumSGPRsForWavesPerEU: 22
; NumVGPRsForWavesPerEU: 256
; Occupancy: 4
; WaveLimiterHint : 1
; COMPUTE_PGM_RSRC2:SCRATCH_EN: 1
; COMPUTE_PGM_RSRC2:USER_SGPR: 6
; COMPUTE_PGM_RSRC2:TRAP_HANDLER: 0
; COMPUTE_PGM_RSRC2:TGID_X_EN: 1
; COMPUTE_PGM_RSRC2:TGID_Y_EN: 0
; COMPUTE_PGM_RSRC2:TGID_Z_EN: 0
; COMPUTE_PGM_RSRC2:TIDIG_COMP_CNT: 0
	.text
	.p2alignl 6, 3214868480
	.fill 48, 4, 3214868480
	.type	__hip_cuid_fbb345f4c54653f8,@object ; @__hip_cuid_fbb345f4c54653f8
	.section	.bss,"aw",@nobits
	.globl	__hip_cuid_fbb345f4c54653f8
__hip_cuid_fbb345f4c54653f8:
	.byte	0                               ; 0x0
	.size	__hip_cuid_fbb345f4c54653f8, 1

	.ident	"AMD clang version 19.0.0git (https://github.com/RadeonOpenCompute/llvm-project roc-6.4.0 25133 c7fe45cf4b819c5991fe208aaa96edf142730f1d)"
	.section	".note.GNU-stack","",@progbits
	.addrsig
	.addrsig_sym __hip_cuid_fbb345f4c54653f8
	.amdgpu_metadata
---
amdhsa.kernels:
  - .args:
      - .actual_access:  read_only
        .address_space:  global
        .offset:         0
        .size:           8
        .value_kind:     global_buffer
      - .actual_access:  read_only
        .address_space:  global
        .offset:         8
        .size:           8
        .value_kind:     global_buffer
      - .actual_access:  read_only
        .address_space:  global
        .offset:         16
        .size:           8
        .value_kind:     global_buffer
      - .actual_access:  read_only
        .address_space:  global
        .offset:         24
        .size:           8
        .value_kind:     global_buffer
      - .actual_access:  read_only
        .address_space:  global
        .offset:         32
        .size:           8
        .value_kind:     global_buffer
      - .offset:         40
        .size:           8
        .value_kind:     by_value
      - .address_space:  global
        .offset:         48
        .size:           8
        .value_kind:     global_buffer
      - .address_space:  global
        .offset:         56
        .size:           8
        .value_kind:     global_buffer
      - .address_space:  global
        .offset:         64
        .size:           8
        .value_kind:     global_buffer
      - .address_space:  global
        .offset:         72
        .size:           8
        .value_kind:     global_buffer
      - .offset:         80
        .size:           4
        .value_kind:     by_value
      - .address_space:  global
        .offset:         88
        .size:           8
        .value_kind:     global_buffer
      - .address_space:  global
        .offset:         96
        .size:           8
        .value_kind:     global_buffer
    .group_segment_fixed_size: 24480
    .kernarg_segment_align: 8
    .kernarg_segment_size: 104
    .language:       OpenCL C
    .language_version:
      - 2
      - 0
    .max_flat_workgroup_size: 204
    .name:           bluestein_single_fwd_len1020_dim1_sp_op_CI_CI
    .private_segment_fixed_size: 52
    .sgpr_count:     22
    .sgpr_spill_count: 0
    .symbol:         bluestein_single_fwd_len1020_dim1_sp_op_CI_CI.kd
    .uniform_work_group_size: 1
    .uses_dynamic_stack: false
    .vgpr_count:     256
    .vgpr_spill_count: 14
    .wavefront_size: 32
    .workgroup_processor_mode: 1
amdhsa.target:   amdgcn-amd-amdhsa--gfx1030
amdhsa.version:
  - 1
  - 2
...

	.end_amdgpu_metadata
